;; amdgpu-corpus repo=ROCm/rocFFT kind=compiled arch=gfx906 opt=O3
	.text
	.amdgcn_target "amdgcn-amd-amdhsa--gfx906"
	.amdhsa_code_object_version 6
	.protected	bluestein_single_back_len440_dim1_dp_op_CI_CI ; -- Begin function bluestein_single_back_len440_dim1_dp_op_CI_CI
	.globl	bluestein_single_back_len440_dim1_dp_op_CI_CI
	.p2align	8
	.type	bluestein_single_back_len440_dim1_dp_op_CI_CI,@function
bluestein_single_back_len440_dim1_dp_op_CI_CI: ; @bluestein_single_back_len440_dim1_dp_op_CI_CI
; %bb.0:
	s_mov_b64 s[46:47], s[2:3]
	s_mov_b64 s[44:45], s[0:1]
	s_load_dwordx4 s[0:3], s[4:5], 0x28
	v_mul_u32_u24_e32 v1, 0x4a8, v0
	v_add_u32_sdwa v248, s6, v1 dst_sel:DWORD dst_unused:UNUSED_PAD src0_sel:DWORD src1_sel:WORD_1
	v_mov_b32_e32 v249, 0
	s_add_u32 s44, s44, s7
	s_waitcnt lgkmcnt(0)
	v_cmp_gt_u64_e32 vcc, s[0:1], v[248:249]
	s_addc_u32 s45, s45, 0
	s_and_saveexec_b64 s[0:1], vcc
	s_cbranch_execz .LBB0_23
; %bb.1:
	s_load_dwordx2 s[14:15], s[4:5], 0x0
	s_load_dwordx2 s[12:13], s[4:5], 0x38
	v_mov_b32_e32 v2, 55
	v_mul_lo_u16_sdwa v1, v1, v2 dst_sel:DWORD dst_unused:UNUSED_PAD src0_sel:WORD_1 src1_sel:DWORD
	v_sub_u16_e32 v255, v0, v1
	v_cmp_gt_u16_e32 vcc, 40, v255
	v_lshlrev_b32_e32 v193, 4, v255
	s_and_saveexec_b64 s[6:7], vcc
	s_cbranch_execz .LBB0_3
; %bb.2:
	s_load_dwordx2 s[0:1], s[4:5], 0x18
	s_waitcnt lgkmcnt(0)
	v_mov_b32_e32 v36, s15
	v_or_b32_e32 v66, 0x140, v255
	v_mov_b32_e32 v67, 0x500
	s_load_dwordx4 s[8:11], s[0:1], 0x0
	s_waitcnt lgkmcnt(0)
	v_mad_u64_u32 v[0:1], s[0:1], s10, v248, 0
	v_mad_u64_u32 v[2:3], s[0:1], s8, v255, 0
	s_movk_i32 s10, 0x1000
	v_mad_u64_u32 v[4:5], s[0:1], s11, v248, v[1:2]
	v_mad_u64_u32 v[5:6], s[0:1], s9, v255, v[3:4]
	v_mov_b32_e32 v1, v4
	v_lshlrev_b64 v[0:1], 4, v[0:1]
	v_mov_b32_e32 v3, v5
	v_mov_b32_e32 v6, s3
	v_lshlrev_b64 v[2:3], 4, v[2:3]
	v_add_co_u32_e64 v39, s[0:1], s2, v0
	v_addc_co_u32_e64 v40, s[0:1], v6, v1, s[0:1]
	v_add_co_u32_e64 v16, s[0:1], v39, v2
	v_addc_co_u32_e64 v17, s[0:1], v40, v3, s[0:1]
	s_mul_i32 s0, s9, 0x280
	s_mul_hi_u32 s2, s8, 0x280
	s_add_i32 s2, s2, s0
	s_mul_i32 s3, s8, 0x280
	v_mov_b32_e32 v0, s2
	v_add_co_u32_e64 v18, s[0:1], s3, v16
	v_addc_co_u32_e64 v19, s[0:1], v17, v0, s[0:1]
	global_load_dwordx4 v[0:3], v[16:17], off
	global_load_dwordx4 v[4:7], v[18:19], off
	global_load_dwordx4 v[8:11], v193, s[14:15]
	global_load_dwordx4 v[12:15], v193, s[14:15] offset:640
	v_mov_b32_e32 v16, s2
	v_add_co_u32_e64 v48, s[0:1], s3, v18
	v_addc_co_u32_e64 v49, s[0:1], v19, v16, s[0:1]
	v_add_co_u32_e64 v38, s[0:1], s14, v193
	v_addc_co_u32_e64 v41, s[0:1], 0, v36, s[0:1]
	v_mad_u64_u32 v[36:37], s[0:1], s8, v66, 0
	v_add_co_u32_e64 v88, s[0:1], s10, v38
	v_addc_co_u32_e64 v89, s[0:1], 0, v41, s[0:1]
	v_mad_u64_u32 v[37:38], s[0:1], s9, v66, v[37:38]
	v_mov_b32_e32 v41, s2
	global_load_dwordx4 v[16:19], v193, s[14:15] offset:1280
	global_load_dwordx4 v[20:23], v193, s[14:15] offset:1920
	;; [unrolled: 1-line block ×5, first 2 shown]
	v_lshlrev_b64 v[36:37], 4, v[36:37]
	v_mov_b32_e32 v53, s2
	v_add_co_u32_e64 v36, s[0:1], v39, v36
	v_addc_co_u32_e64 v37, s[0:1], v40, v37, s[0:1]
	v_add_co_u32_e64 v50, s[0:1], s3, v48
	global_load_dwordx4 v[36:39], v[36:37], off
	v_addc_co_u32_e64 v51, s[0:1], v49, v41, s[0:1]
	global_load_dwordx4 v[40:43], v[48:49], off
	global_load_dwordx4 v[44:47], v[50:51], off
	v_add_co_u32_e64 v52, s[0:1], s3, v50
	v_addc_co_u32_e64 v53, s[0:1], v51, v53, s[0:1]
	v_mov_b32_e32 v54, s2
	v_add_co_u32_e64 v56, s[0:1], s3, v52
	v_addc_co_u32_e64 v57, s[0:1], v53, v54, s[0:1]
	v_mov_b32_e32 v58, s2
	v_add_co_u32_e64 v60, s[0:1], s3, v56
	v_addc_co_u32_e64 v61, s[0:1], v57, v58, s[0:1]
	global_load_dwordx4 v[48:51], v[52:53], off
	v_mov_b32_e32 v62, s2
	global_load_dwordx4 v[52:55], v[56:57], off
	v_add_co_u32_e64 v64, s[0:1], s3, v60
	global_load_dwordx4 v[56:59], v[60:61], off
	v_addc_co_u32_e64 v65, s[0:1], v61, v62, s[0:1]
	v_mad_u64_u32 v[80:81], s[0:1], s8, v67, v[64:65]
	s_mul_i32 s0, s9, 0x500
	global_load_dwordx4 v[60:63], v[64:65], off
	v_lshlrev_b32_e32 v64, 4, v66
	v_add_u32_e32 v81, s0, v81
	global_load_dwordx4 v[64:67], v64, s[14:15]
	s_nop 0
	global_load_dwordx4 v[68:71], v[80:81], off
	global_load_dwordx4 v[72:75], v[88:89], off offset:384
	global_load_dwordx4 v[76:79], v[88:89], off offset:1664
	v_mov_b32_e32 v82, s2
	v_add_co_u32_e64 v90, s[0:1], s3, v80
	v_addc_co_u32_e64 v91, s[0:1], v81, v82, s[0:1]
	global_load_dwordx4 v[80:83], v[90:91], off
	global_load_dwordx4 v[84:87], v[88:89], off offset:2304
	s_waitcnt vmcnt(19)
	v_mul_f64 v[88:89], v[2:3], v[10:11]
	v_mul_f64 v[10:11], v[0:1], v[10:11]
	s_waitcnt vmcnt(18)
	v_mul_f64 v[90:91], v[6:7], v[14:15]
	v_mul_f64 v[14:15], v[4:5], v[14:15]
	v_fma_f64 v[0:1], v[0:1], v[8:9], v[88:89]
	v_fma_f64 v[2:3], v[2:3], v[8:9], -v[10:11]
	v_fma_f64 v[4:5], v[4:5], v[12:13], v[90:91]
	v_fma_f64 v[6:7], v[6:7], v[12:13], -v[14:15]
	ds_write_b128 v193, v[0:3]
	ds_write_b128 v193, v[4:7] offset:640
	s_waitcnt vmcnt(11)
	v_mul_f64 v[88:89], v[42:43], v[18:19]
	v_mul_f64 v[18:19], v[40:41], v[18:19]
	s_waitcnt vmcnt(10)
	v_mul_f64 v[12:13], v[46:47], v[22:23]
	v_mul_f64 v[2:3], v[44:45], v[22:23]
	v_fma_f64 v[8:9], v[40:41], v[16:17], v[88:89]
	v_fma_f64 v[10:11], v[42:43], v[16:17], -v[18:19]
	v_fma_f64 v[0:1], v[44:45], v[20:21], v[12:13]
	v_fma_f64 v[2:3], v[46:47], v[20:21], -v[2:3]
	s_waitcnt vmcnt(9)
	v_mul_f64 v[4:5], v[50:51], v[26:27]
	v_mul_f64 v[6:7], v[48:49], v[26:27]
	s_waitcnt vmcnt(8)
	v_mul_f64 v[12:13], v[54:55], v[30:31]
	v_mul_f64 v[14:15], v[52:53], v[30:31]
	ds_write_b128 v193, v[8:11] offset:1280
	s_waitcnt vmcnt(7)
	v_mul_f64 v[16:17], v[58:59], v[34:35]
	v_mul_f64 v[18:19], v[56:57], v[34:35]
	v_fma_f64 v[4:5], v[48:49], v[24:25], v[4:5]
	v_fma_f64 v[6:7], v[50:51], v[24:25], -v[6:7]
	v_fma_f64 v[8:9], v[52:53], v[28:29], v[12:13]
	v_fma_f64 v[10:11], v[54:55], v[28:29], -v[14:15]
	;; [unrolled: 2-line block ×3, first 2 shown]
	s_waitcnt vmcnt(3)
	v_mul_f64 v[16:17], v[62:63], v[74:75]
	v_mul_f64 v[18:19], v[60:61], v[74:75]
	v_mul_f64 v[20:21], v[38:39], v[66:67]
	v_mul_f64 v[22:23], v[36:37], v[66:67]
	s_waitcnt vmcnt(2)
	v_mul_f64 v[24:25], v[70:71], v[78:79]
	v_mul_f64 v[26:27], v[68:69], v[78:79]
	s_waitcnt vmcnt(0)
	v_mul_f64 v[28:29], v[82:83], v[86:87]
	v_mul_f64 v[30:31], v[80:81], v[86:87]
	v_fma_f64 v[16:17], v[60:61], v[72:73], v[16:17]
	v_fma_f64 v[18:19], v[62:63], v[72:73], -v[18:19]
	v_fma_f64 v[20:21], v[36:37], v[64:65], v[20:21]
	v_fma_f64 v[22:23], v[38:39], v[64:65], -v[22:23]
	;; [unrolled: 2-line block ×4, first 2 shown]
	ds_write_b128 v193, v[0:3] offset:1920
	ds_write_b128 v193, v[4:7] offset:2560
	;; [unrolled: 1-line block ×8, first 2 shown]
.LBB0_3:
	s_or_b64 exec, exec, s[6:7]
	s_load_dwordx2 s[0:1], s[4:5], 0x20
	s_load_dwordx2 s[8:9], s[4:5], 0x8
	s_waitcnt lgkmcnt(0)
	; wave barrier
	s_waitcnt lgkmcnt(0)
                                        ; implicit-def: $vgpr4_vgpr5
                                        ; implicit-def: $vgpr8_vgpr9
                                        ; implicit-def: $vgpr12_vgpr13
                                        ; implicit-def: $vgpr24_vgpr25
                                        ; implicit-def: $vgpr36_vgpr37
                                        ; implicit-def: $vgpr40_vgpr41
                                        ; implicit-def: $vgpr44_vgpr45
                                        ; implicit-def: $vgpr32_vgpr33
                                        ; implicit-def: $vgpr28_vgpr29
                                        ; implicit-def: $vgpr20_vgpr21
                                        ; implicit-def: $vgpr16_vgpr17
	s_and_saveexec_b64 s[2:3], vcc
	s_cbranch_execz .LBB0_5
; %bb.4:
	ds_read_b128 v[4:7], v193
	ds_read_b128 v[16:19], v193 offset:640
	ds_read_b128 v[8:11], v193 offset:1280
	;; [unrolled: 1-line block ×10, first 2 shown]
.LBB0_5:
	s_or_b64 exec, exec, s[2:3]
	s_waitcnt lgkmcnt(0)
	v_add_f64 v[76:77], v[18:19], -v[46:47]
	v_add_f64 v[74:75], v[16:17], -v[44:45]
	s_mov_b32 s2, 0xf8bb580b
	s_mov_b32 s3, 0xbfe14ced
	v_add_f64 v[72:73], v[44:45], v[16:17]
	v_add_f64 v[84:85], v[46:47], v[18:19]
	v_add_f64 v[90:91], v[10:11], -v[42:43]
	v_add_f64 v[88:89], v[8:9], -v[40:41]
	v_mul_f64 v[48:49], v[76:77], s[2:3]
	v_mul_f64 v[54:55], v[74:75], s[2:3]
	s_mov_b32 s6, 0x8764f0ba
	s_mov_b32 s10, 0x8eee2c13
	;; [unrolled: 1-line block ×4, first 2 shown]
	v_add_f64 v[78:79], v[8:9], v[40:41]
	v_mul_f64 v[50:51], v[90:91], s[10:11]
	v_fma_f64 v[0:1], v[72:73], s[6:7], v[48:49]
	v_add_f64 v[96:97], v[10:11], v[42:43]
	v_mul_f64 v[52:53], v[88:89], s[10:11]
	v_fma_f64 v[2:3], v[84:85], s[6:7], -v[54:55]
	v_add_f64 v[104:105], v[22:23], -v[38:39]
	v_add_f64 v[108:109], v[20:21], -v[36:37]
	s_mov_b32 s4, 0xd9c712b6
	s_mov_b32 s18, 0x43842ef
	;; [unrolled: 1-line block ×4, first 2 shown]
	v_fma_f64 v[60:61], v[78:79], s[4:5], v[50:51]
	v_add_f64 v[0:1], v[4:5], v[0:1]
	v_fma_f64 v[62:63], v[96:97], s[4:5], -v[52:53]
	v_add_f64 v[2:3], v[6:7], v[2:3]
	v_add_f64 v[98:99], v[36:37], v[20:21]
	v_mul_f64 v[56:57], v[104:105], s[18:19]
	v_add_f64 v[115:116], v[38:39], v[22:23]
	v_mul_f64 v[58:59], v[108:109], s[18:19]
	v_add_f64 v[117:118], v[30:31], -v[26:27]
	v_add_f64 v[121:122], v[28:29], -v[24:25]
	s_mov_b32 s20, 0x640f44db
	s_mov_b32 s24, 0xbb3a28a1
	;; [unrolled: 1-line block ×4, first 2 shown]
	v_add_f64 v[0:1], v[60:61], v[0:1]
	v_add_f64 v[2:3], v[62:63], v[2:3]
	v_fma_f64 v[64:65], v[98:99], s[20:21], v[56:57]
	v_fma_f64 v[66:67], v[115:116], s[20:21], -v[58:59]
	v_add_f64 v[110:111], v[24:25], v[28:29]
	v_mul_f64 v[60:61], v[117:118], s[24:25]
	v_add_f64 v[149:150], v[26:27], v[30:31]
	v_mul_f64 v[62:63], v[121:122], s[24:25]
	v_mul_f64 v[86:87], v[76:77], s[10:11]
	;; [unrolled: 1-line block ×5, first 2 shown]
	s_mov_b32 s22, 0x7f775887
	s_mov_b32 s30, 0xfd768dbf
	;; [unrolled: 1-line block ×4, first 2 shown]
	v_add_f64 v[0:1], v[64:65], v[0:1]
	v_add_f64 v[2:3], v[66:67], v[2:3]
	v_fma_f64 v[64:65], v[110:111], s[22:23], v[60:61]
	v_fma_f64 v[66:67], v[149:150], s[22:23], -v[62:63]
	v_fma_f64 v[68:69], v[72:73], s[4:5], v[86:87]
	v_mul_f64 v[92:93], v[90:91], s[24:25]
	v_fma_f64 v[70:71], v[84:85], s[4:5], -v[129:130]
	v_mul_f64 v[100:101], v[88:89], s[24:25]
	v_fma_f64 v[113:114], v[72:73], s[20:21], v[119:120]
	v_mul_f64 v[125:126], v[90:91], s[30:31]
	v_fma_f64 v[127:128], v[84:85], s[20:21], -v[151:152]
	v_mul_f64 v[153:154], v[88:89], s[30:31]
	s_mov_b32 s26, 0x9bcd5057
	s_mov_b32 s27, 0xbfeeb42a
	;; [unrolled: 1-line block ×4, first 2 shown]
	v_add_f64 v[0:1], v[64:65], v[0:1]
	v_add_f64 v[2:3], v[66:67], v[2:3]
	;; [unrolled: 1-line block ×3, first 2 shown]
	v_fma_f64 v[66:67], v[78:79], s[22:23], v[92:93]
	v_add_f64 v[68:69], v[6:7], v[70:71]
	v_fma_f64 v[70:71], v[96:97], s[22:23], -v[100:101]
	v_mul_f64 v[94:95], v[104:105], s[30:31]
	v_mul_f64 v[102:103], v[108:109], s[30:31]
	v_add_f64 v[113:114], v[4:5], v[113:114]
	v_fma_f64 v[131:132], v[78:79], s[26:27], v[125:126]
	v_add_f64 v[133:134], v[6:7], v[127:128]
	v_fma_f64 v[139:140], v[96:97], s[26:27], -v[153:154]
	v_mul_f64 v[127:128], v[104:105], s[34:35]
	v_mul_f64 v[135:136], v[108:109], s[34:35]
	s_mov_b32 s37, 0x3fefac9e
	s_mov_b32 s36, s18
	v_add_f64 v[137:138], v[14:15], -v[34:35]
	v_add_f64 v[141:142], v[12:13], -v[32:33]
	v_add_f64 v[64:65], v[66:67], v[64:65]
	v_add_f64 v[66:67], v[70:71], v[68:69]
	v_fma_f64 v[68:69], v[98:99], s[26:27], v[94:95]
	v_fma_f64 v[70:71], v[115:116], s[26:27], -v[102:103]
	v_mul_f64 v[106:107], v[117:118], s[36:37]
	v_mul_f64 v[123:124], v[121:122], s[36:37]
	v_add_f64 v[147:148], v[131:132], v[113:114]
	v_add_f64 v[139:140], v[139:140], v[133:134]
	v_fma_f64 v[161:162], v[98:99], s[4:5], v[127:128]
	v_fma_f64 v[163:164], v[115:116], s[4:5], -v[135:136]
	v_mul_f64 v[131:132], v[117:118], s[2:3]
	v_mul_f64 v[143:144], v[121:122], s[2:3]
	s_mov_b32 s29, 0xbfd207e7
	s_mov_b32 s28, s30
	;; [unrolled: 1-line block ×4, first 2 shown]
	v_add_f64 v[145:146], v[12:13], v[32:33]
	v_mul_f64 v[80:81], v[137:138], s[28:29]
	v_add_f64 v[155:156], v[14:15], v[34:35]
	v_mul_f64 v[82:83], v[141:142], s[28:29]
	v_add_f64 v[64:65], v[68:69], v[64:65]
	v_add_f64 v[66:67], v[70:71], v[66:67]
	v_fma_f64 v[68:69], v[110:111], s[20:21], v[106:107]
	v_fma_f64 v[70:71], v[149:150], s[20:21], -v[123:124]
	v_mul_f64 v[113:114], v[137:138], s[38:39]
	v_mul_f64 v[133:134], v[141:142], s[38:39]
	v_add_f64 v[161:162], v[161:162], v[147:148]
	v_add_f64 v[163:164], v[163:164], v[139:140]
	v_fma_f64 v[165:166], v[110:111], s[6:7], v[131:132]
	v_fma_f64 v[167:168], v[149:150], s[6:7], -v[143:144]
	v_mul_f64 v[139:140], v[137:138], s[24:25]
	v_mul_f64 v[147:148], v[141:142], s[24:25]
	v_fma_f64 v[157:158], v[145:146], s[26:27], v[80:81]
	v_fma_f64 v[159:160], v[155:156], s[26:27], -v[82:83]
	v_add_f64 v[64:65], v[68:69], v[64:65]
	v_add_f64 v[66:67], v[70:71], v[66:67]
	v_fma_f64 v[68:69], v[145:146], s[6:7], v[113:114]
	v_fma_f64 v[70:71], v[155:156], s[6:7], -v[133:134]
	v_add_f64 v[161:162], v[165:166], v[161:162]
	v_add_f64 v[163:164], v[167:168], v[163:164]
	;; [unrolled: 4-line block ×3, first 2 shown]
	v_add_f64 v[68:69], v[68:69], v[64:65]
	v_add_f64 v[70:71], v[70:71], v[66:67]
	v_mul_lo_u16_e32 v112, 11, v255
	v_add_f64 v[64:65], v[165:166], v[161:162]
	v_add_f64 v[66:67], v[167:168], v[163:164]
	; wave barrier
	s_and_saveexec_b64 s[16:17], vcc
	s_cbranch_execz .LBB0_7
; %bb.6:
	v_mul_f64 v[159:160], v[84:85], s[26:27]
	v_mul_f64 v[163:164], v[76:77], s[28:29]
	;; [unrolled: 1-line block ×6, first 2 shown]
	s_mov_b32 s41, 0x3fe82f19
	s_mov_b32 s40, s24
	v_fma_f64 v[232:233], v[74:75], s[30:31], v[159:160]
	v_fma_f64 v[236:237], v[72:73], s[26:27], v[163:164]
	;; [unrolled: 1-line block ×3, first 2 shown]
	v_fma_f64 v[163:164], v[72:73], s[26:27], -v[163:164]
	v_fma_f64 v[240:241], v[88:89], s[2:3], v[230:231]
	v_fma_f64 v[244:245], v[78:79], s[6:7], v[234:235]
	;; [unrolled: 1-line block ×3, first 2 shown]
	v_fma_f64 v[234:235], v[78:79], s[6:7], -v[234:235]
	v_add_f64 v[232:233], v[6:7], v[232:233]
	v_add_f64 v[236:237], v[4:5], v[236:237]
	;; [unrolled: 1-line block ×4, first 2 shown]
	v_mul_f64 v[157:158], v[149:150], s[4:5]
	v_fma_f64 v[238:239], v[108:109], s[40:41], v[226:227]
	v_fma_f64 v[246:247], v[98:99], s[22:23], v[242:243]
	;; [unrolled: 1-line block ×3, first 2 shown]
	v_add_f64 v[232:233], v[240:241], v[232:233]
	v_mul_f64 v[240:241], v[117:118], s[34:35]
	v_add_f64 v[236:237], v[244:245], v[236:237]
	v_add_f64 v[159:160], v[230:231], v[159:160]
	v_fma_f64 v[230:231], v[98:99], s[22:23], -v[242:243]
	v_add_f64 v[163:164], v[234:235], v[163:164]
	v_mul_f64 v[161:162], v[155:156], s[20:21]
	v_fma_f64 v[228:229], v[121:122], s[10:11], v[157:158]
	v_add_f64 v[232:233], v[238:239], v[232:233]
	v_mul_f64 v[234:235], v[137:138], s[18:19]
	v_fma_f64 v[238:239], v[110:111], s[4:5], v[240:241]
	v_add_f64 v[236:237], v[246:247], v[236:237]
	v_fma_f64 v[157:158], v[121:122], s[34:35], v[157:158]
	v_add_f64 v[159:160], v[226:227], v[159:160]
	v_fma_f64 v[226:227], v[110:111], s[4:5], -v[240:241]
	v_add_f64 v[163:164], v[230:231], v[163:164]
	v_mul_f64 v[167:168], v[84:85], s[6:7]
	v_mul_f64 v[171:172], v[84:85], s[4:5]
	;; [unrolled: 1-line block ×3, first 2 shown]
	v_fma_f64 v[230:231], v[141:142], s[36:37], v[161:162]
	v_add_f64 v[228:229], v[228:229], v[232:233]
	v_fma_f64 v[232:233], v[145:146], s[20:21], v[234:235]
	v_add_f64 v[236:237], v[238:239], v[236:237]
	;; [unrolled: 2-line block ×3, first 2 shown]
	v_fma_f64 v[234:235], v[145:146], s[20:21], -v[234:235]
	v_add_f64 v[226:227], v[226:227], v[163:164]
	v_mul_f64 v[84:85], v[84:85], s[22:23]
	v_mul_f64 v[179:180], v[96:97], s[4:5]
	;; [unrolled: 1-line block ×5, first 2 shown]
	v_add_f64 v[163:164], v[161:162], v[238:239]
	v_mul_f64 v[96:97], v[96:97], s[20:21]
	v_add_f64 v[161:162], v[234:235], v[226:227]
	v_fma_f64 v[226:227], v[74:75], s[24:25], v[84:85]
	v_add_f64 v[18:19], v[6:7], v[18:19]
	v_add_f64 v[16:17], v[4:5], v[16:17]
	v_mul_f64 v[191:192], v[115:116], s[20:21]
	v_mul_f64 v[198:199], v[115:116], s[26:27]
	;; [unrolled: 1-line block ×3, first 2 shown]
	v_add_f64 v[159:160], v[230:231], v[228:229]
	v_fma_f64 v[74:75], v[74:75], s[40:41], v[84:85]
	v_mul_f64 v[90:91], v[90:91], s[36:37]
	v_fma_f64 v[228:229], v[72:73], s[22:23], v[76:77]
	v_mul_f64 v[115:116], v[115:116], s[6:7]
	v_fma_f64 v[230:231], v[88:89], s[18:19], v[96:97]
	v_fma_f64 v[88:89], v[88:89], s[36:37], v[96:97]
	v_add_f64 v[96:97], v[6:7], v[226:227]
	v_add_f64 v[10:11], v[10:11], v[18:19]
	;; [unrolled: 1-line block ×3, first 2 shown]
	v_mul_f64 v[165:166], v[72:73], s[6:7]
	v_mul_f64 v[169:170], v[72:73], s[4:5]
	;; [unrolled: 1-line block ×6, first 2 shown]
	v_add_f64 v[157:158], v[232:233], v[236:237]
	v_mul_f64 v[149:150], v[149:150], s[26:27]
	v_add_f64 v[74:75], v[6:7], v[74:75]
	v_mul_f64 v[104:105], v[104:105], s[2:3]
	v_fma_f64 v[226:227], v[78:79], s[20:21], v[90:91]
	v_add_f64 v[228:229], v[4:5], v[228:229]
	v_fma_f64 v[232:233], v[108:109], s[38:39], v[115:116]
	v_fma_f64 v[108:109], v[108:109], s[2:3], v[115:116]
	v_fma_f64 v[72:73], v[72:73], s[22:23], -v[76:77]
	v_add_f64 v[76:77], v[88:89], v[96:97]
	v_add_f64 v[10:11], v[22:23], v[10:11]
	;; [unrolled: 1-line block ×3, first 2 shown]
	v_mul_f64 v[177:178], v[78:79], s[4:5]
	v_mul_f64 v[181:182], v[78:79], s[22:23]
	;; [unrolled: 1-line block ×7, first 2 shown]
	v_add_f64 v[74:75], v[230:231], v[74:75]
	v_mul_f64 v[88:89], v[117:118], s[28:29]
	v_fma_f64 v[96:97], v[98:99], s[6:7], v[104:105]
	v_add_f64 v[115:116], v[226:227], v[228:229]
	v_fma_f64 v[117:118], v[121:122], s[28:29], v[149:150]
	v_fma_f64 v[78:79], v[78:79], s[20:21], -v[90:91]
	v_add_f64 v[72:73], v[4:5], v[72:73]
	v_add_f64 v[76:77], v[108:109], v[76:77]
	v_add_f64 v[10:11], v[30:31], v[10:11]
	v_add_f64 v[8:9], v[28:29], v[8:9]
	v_mul_f64 v[189:190], v[98:99], s[20:21]
	v_mul_f64 v[196:197], v[98:99], s[26:27]
	;; [unrolled: 1-line block ×3, first 2 shown]
	v_fma_f64 v[84:85], v[121:122], s[30:31], v[149:150]
	v_add_f64 v[74:75], v[232:233], v[74:75]
	v_add_f64 v[96:97], v[96:97], v[115:116]
	v_fma_f64 v[115:116], v[141:142], s[34:35], v[155:156]
	v_fma_f64 v[98:99], v[98:99], s[6:7], -v[104:105]
	v_add_f64 v[72:73], v[78:79], v[72:73]
	v_add_f64 v[76:77], v[117:118], v[76:77]
	;; [unrolled: 1-line block ×3, first 2 shown]
	v_fma_f64 v[108:109], v[110:111], s[26:27], v[88:89]
	v_add_f64 v[10:11], v[14:15], v[10:11]
	v_add_f64 v[8:9], v[12:13], v[8:9]
	;; [unrolled: 1-line block ×9, first 2 shown]
	v_add_f64 v[12:13], v[165:166], -v[48:49]
	v_add_f64 v[96:97], v[108:109], v[96:97]
	v_fma_f64 v[88:89], v[110:111], s[26:27], -v[88:89]
	v_add_f64 v[108:109], v[173:174], -v[119:120]
	v_add_f64 v[14:15], v[169:170], -v[86:87]
	v_add_f64 v[10:11], v[34:35], v[10:11]
	v_add_f64 v[8:9], v[32:33], v[8:9]
	;; [unrolled: 1-line block ×7, first 2 shown]
	v_add_f64 v[50:51], v[177:178], -v[50:51]
	v_add_f64 v[12:13], v[4:5], v[12:13]
	v_add_f64 v[72:73], v[88:89], v[72:73]
	;; [unrolled: 1-line block ×4, first 2 shown]
	v_add_f64 v[48:49], v[181:182], -v[92:93]
	v_add_f64 v[4:5], v[4:5], v[14:15]
	v_add_f64 v[18:19], v[185:186], -v[125:126]
	v_add_f64 v[10:11], v[26:27], v[10:11]
	v_add_f64 v[8:9], v[24:25], v[8:9]
	v_mul_f64 v[204:205], v[110:111], s[22:23]
	v_add_f64 v[32:33], v[58:59], v[191:192]
	v_add_f64 v[6:7], v[52:53], v[6:7]
	v_add_f64 v[34:35], v[189:190], -v[56:57]
	v_add_f64 v[12:13], v[50:51], v[12:13]
	v_mul_f64 v[208:209], v[110:111], s[20:21]
	v_add_f64 v[16:17], v[143:144], v[214:215]
	v_add_f64 v[76:77], v[88:89], v[76:77]
	;; [unrolled: 1-line block ×4, first 2 shown]
	v_add_f64 v[14:15], v[196:197], -v[94:95]
	v_add_f64 v[4:5], v[48:49], v[4:5]
	v_mul_f64 v[212:213], v[110:111], s[6:7]
	v_add_f64 v[22:23], v[200:201], -v[127:128]
	v_add_f64 v[18:19], v[18:19], v[104:105]
	v_add_f64 v[10:11], v[38:39], v[10:11]
	;; [unrolled: 1-line block ×3, first 2 shown]
	v_mul_f64 v[216:217], v[145:146], s[26:27]
	v_add_f64 v[26:27], v[62:63], v[206:207]
	v_add_f64 v[6:7], v[32:33], v[6:7]
	v_add_f64 v[32:33], v[204:205], -v[60:61]
	v_add_f64 v[12:13], v[34:35], v[12:13]
	v_mul_f64 v[220:221], v[145:146], s[6:7]
	v_add_f64 v[16:17], v[16:17], v[76:77]
	v_add_f64 v[76:77], v[123:124], v[210:211]
	;; [unrolled: 1-line block ×3, first 2 shown]
	v_add_f64 v[24:25], v[208:209], -v[106:107]
	v_add_f64 v[4:5], v[14:15], v[4:5]
	v_mul_f64 v[224:225], v[145:146], s[22:23]
	v_add_f64 v[30:31], v[212:213], -v[131:132]
	v_add_f64 v[18:19], v[22:23], v[18:19]
	v_mul_f64 v[90:91], v[137:138], s[34:35]
	v_add_f64 v[20:21], v[147:148], v[240:241]
	v_add_f64 v[38:39], v[42:43], v[10:11]
	;; [unrolled: 1-line block ×5, first 2 shown]
	v_add_f64 v[36:37], v[216:217], -v[80:81]
	v_add_f64 v[12:13], v[32:33], v[12:13]
	v_add_f64 v[22:23], v[133:134], v[222:223]
	;; [unrolled: 1-line block ×3, first 2 shown]
	v_add_f64 v[34:35], v[220:221], -v[113:114]
	v_add_f64 v[4:5], v[24:25], v[4:5]
	v_add_f64 v[28:29], v[224:225], -v[139:140]
	v_add_f64 v[24:25], v[30:31], v[18:19]
	v_fma_f64 v[117:118], v[145:146], s[4:5], v[90:91]
	v_fma_f64 v[90:91], v[145:146], s[4:5], -v[90:91]
	v_fma_f64 v[78:79], v[141:142], s[10:11], v[155:156]
	v_add_f64 v[6:7], v[20:21], v[16:17]
	v_add_f64 v[18:19], v[46:47], v[38:39]
	;; [unrolled: 1-line block ×11, first 2 shown]
	v_lshlrev_b32_e32 v24, 4, v112
	ds_write_b128 v24, v[16:19]
	ds_write_b128 v24, v[12:15] offset:16
	ds_write_b128 v24, v[8:11] offset:32
	ds_write_b128 v24, v[4:7] offset:48
	ds_write_b128 v24, v[72:75] offset:64
	ds_write_b128 v24, v[161:164] offset:80
	ds_write_b128 v24, v[157:160] offset:96
	ds_write_b128 v24, v[20:23] offset:112
	ds_write_b128 v24, v[64:67] offset:128
	ds_write_b128 v24, v[68:71] offset:144
	ds_write_b128 v24, v[0:3] offset:160
.LBB0_7:
	s_or_b64 exec, exec, s[16:17]
	s_movk_i32 s2, 0x75
	v_mul_lo_u16_sdwa v4, v255, s2 dst_sel:DWORD dst_unused:UNUSED_PAD src0_sel:BYTE_0 src1_sel:DWORD
	v_sub_u16_sdwa v5, v255, v4 dst_sel:DWORD dst_unused:UNUSED_PAD src0_sel:DWORD src1_sel:BYTE_1
	v_lshrrev_b16_e32 v5, 1, v5
	v_and_b32_e32 v5, 0x7f, v5
	v_add_u16_sdwa v4, v5, v4 dst_sel:DWORD dst_unused:UNUSED_PAD src0_sel:DWORD src1_sel:BYTE_1
	v_lshrrev_b16_e32 v72, 3, v4
	v_mul_lo_u16_e32 v4, 11, v72
	v_sub_u16_e32 v4, v255, v4
	v_and_b32_e32 v73, 0xff, v4
	v_mov_b32_e32 v4, s8
	s_movk_i32 s2, 0x70
	v_mov_b32_e32 v5, s9
	v_mad_u64_u32 v[4:5], s[2:3], v73, s2, v[4:5]
	s_load_dwordx4 s[4:7], s[0:1], 0x0
	s_waitcnt lgkmcnt(0)
	; wave barrier
	s_waitcnt lgkmcnt(0)
	global_load_dwordx4 v[32:35], v[4:5], off
	global_load_dwordx4 v[28:31], v[4:5], off offset:16
	global_load_dwordx4 v[24:27], v[4:5], off offset:32
	;; [unrolled: 1-line block ×6, first 2 shown]
	ds_read_b128 v[4:7], v193
	ds_read_b128 v[8:11], v193 offset:880
	ds_read_b128 v[12:15], v193 offset:1760
	;; [unrolled: 1-line block ×7, first 2 shown]
	v_mul_u32_u24_e32 v72, 0x58, v72
	v_add_lshl_u32 v196, v72, v73, 4
	s_mov_b32 s0, 0x667f3bcd
	s_mov_b32 s1, 0xbfe6a09e
	;; [unrolled: 1-line block ×4, first 2 shown]
	s_waitcnt lgkmcnt(0)
	; wave barrier
	s_waitcnt vmcnt(6) lgkmcnt(0)
	v_mul_f64 v[72:73], v[10:11], v[34:35]
	v_mul_f64 v[74:75], v[8:9], v[34:35]
	s_waitcnt vmcnt(5)
	v_mul_f64 v[76:77], v[14:15], v[30:31]
	v_mul_f64 v[78:79], v[12:13], v[30:31]
	s_waitcnt vmcnt(4)
	;; [unrolled: 3-line block ×6, first 2 shown]
	v_mul_f64 v[96:97], v[62:63], v[38:39]
	v_mul_f64 v[98:99], v[60:61], v[38:39]
	v_fma_f64 v[8:9], v[8:9], v[32:33], -v[72:73]
	v_fma_f64 v[10:11], v[10:11], v[32:33], v[74:75]
	v_fma_f64 v[12:13], v[12:13], v[28:29], -v[76:77]
	v_fma_f64 v[14:15], v[14:15], v[28:29], v[78:79]
	;; [unrolled: 2-line block ×7, first 2 shown]
	v_add_f64 v[48:49], v[4:5], -v[48:49]
	v_add_f64 v[50:51], v[6:7], -v[50:51]
	;; [unrolled: 1-line block ×8, first 2 shown]
	v_fma_f64 v[4:5], v[4:5], 2.0, -v[48:49]
	v_fma_f64 v[6:7], v[6:7], 2.0, -v[50:51]
	;; [unrolled: 1-line block ×8, first 2 shown]
	v_add_f64 v[58:59], v[48:49], -v[58:59]
	v_add_f64 v[56:57], v[50:51], v[56:57]
	v_add_f64 v[62:63], v[52:53], -v[62:63]
	v_add_f64 v[60:61], v[54:55], v[60:61]
	v_add_f64 v[12:13], v[4:5], -v[12:13]
	v_add_f64 v[14:15], v[6:7], -v[14:15]
	;; [unrolled: 1-line block ×4, first 2 shown]
	v_fma_f64 v[48:49], v[48:49], 2.0, -v[58:59]
	v_fma_f64 v[50:51], v[50:51], 2.0, -v[56:57]
	;; [unrolled: 1-line block ×4, first 2 shown]
	v_fma_f64 v[72:73], v[62:63], s[2:3], v[58:59]
	v_fma_f64 v[74:75], v[60:61], s[2:3], v[56:57]
	v_fma_f64 v[88:89], v[4:5], 2.0, -v[12:13]
	v_fma_f64 v[90:91], v[6:7], 2.0, -v[14:15]
	;; [unrolled: 1-line block ×4, first 2 shown]
	v_fma_f64 v[8:9], v[52:53], s[0:1], v[48:49]
	v_fma_f64 v[10:11], v[54:55], s[0:1], v[50:51]
	v_add_f64 v[76:77], v[12:13], -v[18:19]
	v_add_f64 v[78:79], v[14:15], v[16:17]
	v_fma_f64 v[80:81], v[60:61], s[0:1], v[72:73]
	v_fma_f64 v[82:83], v[62:63], s[2:3], v[74:75]
	v_add_f64 v[4:5], v[88:89], -v[4:5]
	v_add_f64 v[6:7], v[90:91], -v[6:7]
	v_fma_f64 v[84:85], v[54:55], s[0:1], v[8:9]
	v_fma_f64 v[86:87], v[52:53], s[2:3], v[10:11]
	v_fma_f64 v[8:9], v[12:13], 2.0, -v[76:77]
	v_fma_f64 v[10:11], v[14:15], 2.0, -v[78:79]
	;; [unrolled: 1-line block ×8, first 2 shown]
	ds_write_b128 v196, v[76:79] offset:1056
	ds_write_b128 v196, v[80:83] offset:1232
	;; [unrolled: 1-line block ×6, first 2 shown]
	ds_write_b128 v196, v[16:19]
	ds_write_b128 v196, v[48:51] offset:176
	s_waitcnt lgkmcnt(0)
	; wave barrier
	s_waitcnt lgkmcnt(0)
	ds_read_b128 v[72:75], v193
	ds_read_b128 v[100:103], v193 offset:1408
	ds_read_b128 v[96:99], v193 offset:2816
	;; [unrolled: 1-line block ×4, first 2 shown]
	v_cmp_gt_u16_e64 s[0:1], 33, v255
	s_and_saveexec_b64 s[2:3], s[0:1]
	s_cbranch_execz .LBB0_9
; %bb.8:
	ds_read_b128 v[84:87], v193 offset:880
	ds_read_b128 v[76:79], v193 offset:2288
	;; [unrolled: 1-line block ×5, first 2 shown]
.LBB0_9:
	s_or_b64 exec, exec, s[2:3]
	v_add_co_u32_e64 v4, s[2:3], 55, v255
	v_addc_co_u32_e64 v5, s[2:3], 0, 0, s[2:3]
	v_lshlrev_b32_e32 v6, 6, v255
	global_load_dwordx4 v[48:51], v6, s[8:9] offset:1280
	global_load_dwordx4 v[52:55], v6, s[8:9] offset:1264
	;; [unrolled: 1-line block ×4, first 2 shown]
	s_movk_i32 s2, 0xffdf
	v_add_co_u32_e64 v6, s[2:3], s2, v255
	v_addc_co_u32_e64 v7, s[2:3], 0, -1, s[2:3]
	v_cndmask_b32_e64 v5, v7, v5, s[0:1]
	v_cndmask_b32_e64 v4, v6, v4, s[0:1]
	v_lshlrev_b64 v[4:5], 6, v[4:5]
	v_mov_b32_e32 v6, s9
	v_add_co_u32_e64 v104, s[2:3], s8, v4
	v_addc_co_u32_e64 v105, s[2:3], v6, v5, s[2:3]
	global_load_dwordx4 v[4:7], v[104:105], off offset:1232
	global_load_dwordx4 v[16:19], v[104:105], off offset:1248
	global_load_dwordx4 v[12:15], v[104:105], off offset:1264
	global_load_dwordx4 v[8:11], v[104:105], off offset:1280
	s_mov_b32 s10, 0x134454ff
	s_mov_b32 s11, 0x3fee6f0e
	;; [unrolled: 1-line block ×10, first 2 shown]
	s_waitcnt vmcnt(7) lgkmcnt(0)
	v_mul_f64 v[117:118], v[90:91], v[50:51]
	s_waitcnt vmcnt(6)
	v_mul_f64 v[113:114], v[94:95], v[54:55]
	s_waitcnt vmcnt(5)
	;; [unrolled: 2-line block ×3, first 2 shown]
	v_mul_f64 v[104:105], v[102:103], v[62:63]
	v_mul_f64 v[106:107], v[100:101], v[62:63]
	;; [unrolled: 1-line block ×5, first 2 shown]
	v_fma_f64 v[88:89], v[88:89], v[48:49], -v[117:118]
	v_fma_f64 v[92:93], v[92:93], v[52:53], -v[113:114]
	;; [unrolled: 1-line block ×4, first 2 shown]
	v_fma_f64 v[102:103], v[102:103], v[60:61], v[106:107]
	v_fma_f64 v[98:99], v[98:99], v[56:57], v[110:111]
	s_waitcnt vmcnt(3)
	v_mul_f64 v[121:122], v[78:79], v[6:7]
	v_mul_f64 v[123:124], v[76:77], v[6:7]
	s_waitcnt vmcnt(2)
	v_mul_f64 v[125:126], v[82:83], v[18:19]
	v_mul_f64 v[127:128], v[80:81], v[18:19]
	;; [unrolled: 3-line block ×3, first 2 shown]
	s_waitcnt vmcnt(0)
	v_mul_f64 v[133:134], v[70:71], v[10:11]
	v_fma_f64 v[94:95], v[94:95], v[52:53], v[115:116]
	v_fma_f64 v[90:91], v[90:91], v[48:49], v[119:120]
	v_mul_f64 v[135:136], v[68:69], v[10:11]
	v_fma_f64 v[104:105], v[76:77], v[4:5], -v[121:122]
	v_fma_f64 v[106:107], v[78:79], v[4:5], v[123:124]
	v_fma_f64 v[108:109], v[80:81], v[16:17], -v[125:126]
	v_fma_f64 v[110:111], v[82:83], v[16:17], v[127:128]
	;; [unrolled: 2-line block ×3, first 2 shown]
	v_fma_f64 v[117:118], v[68:69], v[8:9], -v[133:134]
	v_add_f64 v[64:65], v[72:73], v[100:101]
	v_add_f64 v[66:67], v[96:97], v[92:93]
	v_add_f64 v[76:77], v[100:101], -v[96:97]
	v_add_f64 v[78:79], v[88:89], -v[92:93]
	v_add_f64 v[80:81], v[100:101], v[88:89]
	v_add_f64 v[82:83], v[96:97], -v[100:101]
	v_add_f64 v[121:122], v[92:93], -v[88:89]
	v_add_f64 v[123:124], v[74:75], v[102:103]
	v_add_f64 v[125:126], v[98:99], v[94:95]
	;; [unrolled: 1-line block ×3, first 2 shown]
	v_fma_f64 v[119:120], v[70:71], v[8:9], v[135:136]
	v_add_f64 v[68:69], v[102:103], -v[90:91]
	v_add_f64 v[70:71], v[98:99], -v[94:95]
	;; [unrolled: 1-line block ×4, first 2 shown]
	v_add_f64 v[139:140], v[108:109], v[113:114]
	v_add_f64 v[64:65], v[64:65], v[96:97]
	v_fma_f64 v[66:67], v[66:67], -0.5, v[72:73]
	v_add_f64 v[76:77], v[76:77], v[78:79]
	v_fma_f64 v[72:73], v[80:81], -0.5, v[72:73]
	v_add_f64 v[78:79], v[82:83], v[121:122]
	v_add_f64 v[80:81], v[123:124], v[98:99]
	v_fma_f64 v[82:83], v[125:126], -0.5, v[74:75]
	v_fma_f64 v[74:75], v[133:134], -0.5, v[74:75]
	v_add_f64 v[129:130], v[102:103], -v[98:99]
	v_add_f64 v[131:132], v[90:91], -v[94:95]
	;; [unrolled: 1-line block ×4, first 2 shown]
	v_add_f64 v[137:138], v[84:85], v[104:105]
	v_add_f64 v[141:142], v[106:107], -v[119:120]
	v_fma_f64 v[121:122], v[139:140], -0.5, v[84:85]
	v_add_f64 v[64:65], v[64:65], v[92:93]
	v_fma_f64 v[92:93], v[68:69], s[10:11], v[66:67]
	v_fma_f64 v[66:67], v[68:69], s[18:19], v[66:67]
	v_fma_f64 v[123:124], v[70:71], s[18:19], v[72:73]
	v_fma_f64 v[72:73], v[70:71], s[10:11], v[72:73]
	v_add_f64 v[80:81], v[80:81], v[94:95]
	v_fma_f64 v[94:95], v[100:101], s[18:19], v[82:83]
	v_fma_f64 v[125:126], v[127:128], s[10:11], v[74:75]
	;; [unrolled: 1-line block ×3, first 2 shown]
	v_add_f64 v[143:144], v[110:111], -v[115:116]
	v_add_f64 v[145:146], v[104:105], -v[108:109]
	;; [unrolled: 1-line block ×3, first 2 shown]
	v_add_f64 v[96:97], v[129:130], v[131:132]
	v_add_f64 v[98:99], v[102:103], v[135:136]
	;; [unrolled: 1-line block ×3, first 2 shown]
	v_fma_f64 v[82:83], v[100:101], s[10:11], v[82:83]
	v_fma_f64 v[129:130], v[141:142], s[10:11], v[121:122]
	v_add_f64 v[64:65], v[64:65], v[88:89]
	v_fma_f64 v[88:89], v[70:71], s[2:3], v[92:93]
	v_fma_f64 v[70:71], v[70:71], s[16:17], v[66:67]
	;; [unrolled: 1-line block ×4, first 2 shown]
	v_add_f64 v[66:67], v[80:81], v[90:91]
	v_fma_f64 v[90:91], v[127:128], s[16:17], v[94:95]
	v_fma_f64 v[94:95], v[100:101], s[16:17], v[125:126]
	;; [unrolled: 1-line block ×3, first 2 shown]
	v_add_f64 v[149:150], v[104:105], v[117:118]
	v_fma_f64 v[68:69], v[76:77], s[8:9], v[88:89]
	v_fma_f64 v[80:81], v[76:77], s[8:9], v[70:71]
	;; [unrolled: 1-line block ×4, first 2 shown]
	v_add_f64 v[88:89], v[102:103], v[113:114]
	v_fma_f64 v[92:93], v[143:144], s[2:3], v[129:130]
	v_add_f64 v[102:103], v[145:146], v[147:148]
	v_fma_f64 v[74:75], v[98:99], s[8:9], v[94:95]
	v_fma_f64 v[78:79], v[98:99], s[8:9], v[100:101]
	v_add_f64 v[94:95], v[110:111], v[115:116]
	v_add_f64 v[100:101], v[106:107], v[119:120]
	v_fma_f64 v[82:83], v[127:128], s[2:3], v[82:83]
	v_fma_f64 v[70:71], v[96:97], s[8:9], v[90:91]
	v_fma_f64 v[90:91], v[149:150], -0.5, v[84:85]
	v_add_f64 v[84:85], v[88:89], v[117:118]
	v_fma_f64 v[88:89], v[102:103], s[8:9], v[92:93]
	v_fma_f64 v[92:93], v[141:142], s[18:19], v[121:122]
	v_add_f64 v[98:99], v[108:109], -v[104:105]
	v_add_f64 v[121:122], v[113:114], -v[117:118]
	v_add_f64 v[123:124], v[86:87], v[106:107]
	v_fma_f64 v[94:95], v[94:95], -0.5, v[86:87]
	v_add_f64 v[104:105], v[104:105], -v[117:118]
	v_add_f64 v[108:109], v[108:109], -v[113:114]
	v_fma_f64 v[86:87], v[100:101], -0.5, v[86:87]
	v_fma_f64 v[82:83], v[96:97], s[8:9], v[82:83]
	v_fma_f64 v[96:97], v[143:144], s[18:19], v[90:91]
	v_add_f64 v[98:99], v[98:99], v[121:122]
	v_fma_f64 v[90:91], v[143:144], s[10:11], v[90:91]
	v_add_f64 v[100:101], v[123:124], v[110:111]
	v_fma_f64 v[113:114], v[104:105], s[18:19], v[94:95]
	v_add_f64 v[117:118], v[106:107], -v[110:111]
	v_add_f64 v[121:122], v[119:120], -v[115:116]
	v_fma_f64 v[94:95], v[104:105], s[10:11], v[94:95]
	v_fma_f64 v[123:124], v[108:109], s[10:11], v[86:87]
	v_add_f64 v[106:107], v[110:111], -v[106:107]
	v_add_f64 v[110:111], v[115:116], -v[119:120]
	v_fma_f64 v[86:87], v[108:109], s[18:19], v[86:87]
	v_fma_f64 v[92:93], v[143:144], s[16:17], v[92:93]
	;; [unrolled: 1-line block ×4, first 2 shown]
	v_add_f64 v[115:116], v[100:101], v[115:116]
	v_fma_f64 v[113:114], v[108:109], s[16:17], v[113:114]
	v_add_f64 v[117:118], v[117:118], v[121:122]
	v_fma_f64 v[94:95], v[108:109], s[2:3], v[94:95]
	v_fma_f64 v[108:109], v[104:105], s[16:17], v[123:124]
	v_add_f64 v[106:107], v[106:107], v[110:111]
	v_fma_f64 v[104:105], v[104:105], s[2:3], v[86:87]
	v_fma_f64 v[100:101], v[102:103], s[8:9], v[92:93]
	;; [unrolled: 1-line block ×4, first 2 shown]
	v_add_f64 v[86:87], v[115:116], v[119:120]
	v_fma_f64 v[90:91], v[117:118], s[8:9], v[113:114]
	v_fma_f64 v[102:103], v[117:118], s[8:9], v[94:95]
	;; [unrolled: 1-line block ×4, first 2 shown]
	ds_write_b128 v193, v[64:67]
	ds_write_b128 v193, v[68:71] offset:1408
	ds_write_b128 v193, v[72:75] offset:2816
	;; [unrolled: 1-line block ×4, first 2 shown]
	s_and_saveexec_b64 s[2:3], s[0:1]
	s_cbranch_execz .LBB0_11
; %bb.10:
	ds_write_b128 v193, v[84:87] offset:880
	ds_write_b128 v193, v[88:91] offset:2288
	;; [unrolled: 1-line block ×5, first 2 shown]
.LBB0_11:
	s_or_b64 exec, exec, s[2:3]
	s_waitcnt lgkmcnt(0)
	; wave barrier
	s_waitcnt lgkmcnt(0)
	s_and_saveexec_b64 s[8:9], vcc
	s_cbranch_execz .LBB0_13
; %bb.12:
	s_add_u32 s10, s14, 0x1b80
	s_addc_u32 s11, s15, 0
	global_load_dwordx4 v[104:107], v193, s[10:11]
	global_load_dwordx4 v[108:111], v193, s[10:11] offset:640
	v_mov_b32_e32 v113, s11
	v_add_co_u32_e64 v137, s[2:3], s10, v193
	v_addc_co_u32_e64 v138, s[2:3], 0, v113, s[2:3]
	s_movk_i32 s2, 0x1000
	global_load_dwordx4 v[113:116], v193, s[10:11] offset:1280
	global_load_dwordx4 v[117:120], v193, s[10:11] offset:1920
	;; [unrolled: 1-line block ×5, first 2 shown]
	v_or_b32_e32 v133, 0x1400, v193
	v_add_co_u32_e64 v145, s[2:3], s2, v137
	global_load_dwordx4 v[133:136], v133, s[10:11]
	v_addc_co_u32_e64 v146, s[2:3], 0, v138, s[2:3]
	global_load_dwordx4 v[137:140], v[145:146], off offset:384
	global_load_dwordx4 v[141:144], v[145:146], off offset:1664
	s_nop 0
	global_load_dwordx4 v[145:148], v[145:146], off offset:2304
	ds_read_b128 v[149:152], v193
	ds_read_b128 v[153:156], v193 offset:640
	ds_read_b128 v[157:160], v193 offset:1280
	;; [unrolled: 1-line block ×10, first 2 shown]
	s_waitcnt vmcnt(10) lgkmcnt(10)
	v_mul_f64 v[197:198], v[151:152], v[106:107]
	v_mul_f64 v[106:107], v[149:150], v[106:107]
	s_waitcnt vmcnt(9) lgkmcnt(9)
	v_mul_f64 v[199:200], v[155:156], v[110:111]
	v_mul_f64 v[110:111], v[153:154], v[110:111]
	;; [unrolled: 3-line block ×8, first 2 shown]
	s_waitcnt vmcnt(2)
	v_mul_f64 v[213:214], v[179:180], v[139:140]
	v_mul_f64 v[139:140], v[177:178], v[139:140]
	s_waitcnt vmcnt(1) lgkmcnt(1)
	v_mul_f64 v[215:216], v[187:188], v[143:144]
	v_mul_f64 v[143:144], v[185:186], v[143:144]
	s_waitcnt vmcnt(0) lgkmcnt(0)
	v_mul_f64 v[217:218], v[191:192], v[147:148]
	v_mul_f64 v[219:220], v[189:190], v[147:148]
	v_fma_f64 v[147:148], v[149:150], v[104:105], -v[197:198]
	v_fma_f64 v[149:150], v[151:152], v[104:105], v[106:107]
	v_fma_f64 v[104:105], v[153:154], v[108:109], -v[199:200]
	v_fma_f64 v[106:107], v[155:156], v[108:109], v[110:111]
	;; [unrolled: 2-line block ×11, first 2 shown]
	ds_write_b128 v193, v[147:150]
	ds_write_b128 v193, v[104:107] offset:640
	ds_write_b128 v193, v[108:111] offset:1280
	ds_write_b128 v193, v[113:116] offset:1920
	ds_write_b128 v193, v[117:120] offset:2560
	ds_write_b128 v193, v[121:124] offset:3200
	ds_write_b128 v193, v[125:128] offset:3840
	ds_write_b128 v193, v[129:132] offset:5120
	ds_write_b128 v193, v[133:136] offset:4480
	ds_write_b128 v193, v[137:140] offset:5760
	ds_write_b128 v193, v[141:144] offset:6400
.LBB0_13:
	s_or_b64 exec, exec, s[8:9]
	s_waitcnt lgkmcnt(0)
	; wave barrier
	s_waitcnt lgkmcnt(0)
	s_and_saveexec_b64 s[2:3], vcc
	s_cbranch_execz .LBB0_15
; %bb.14:
	ds_read_b128 v[64:67], v193
	ds_read_b128 v[68:71], v193 offset:640
	ds_read_b128 v[72:75], v193 offset:1280
	;; [unrolled: 1-line block ×10, first 2 shown]
.LBB0_15:
	s_or_b64 exec, exec, s[2:3]
	s_waitcnt lgkmcnt(0)
	v_add_f64 v[117:118], v[70:71], -v[2:3]
	v_add_f64 v[115:116], v[2:3], v[70:71]
	s_mov_b32 s2, 0xd9c712b6
	s_mov_b32 s10, 0x8eee2c13
	s_mov_b32 s3, 0x3fda9628
	s_mov_b32 s11, 0xbfed1bb4
	v_add_f64 v[113:114], v[0:1], v[68:69]
	v_add_f64 v[137:138], v[68:69], -v[0:1]
	v_mul_f64 v[149:150], v[117:118], s[10:11]
	v_mul_f64 v[157:158], v[115:116], s[2:3]
	v_add_f64 v[123:124], v[74:75], -v[102:103]
	v_add_f64 v[121:122], v[74:75], v[102:103]
	s_mov_b32 s8, 0x640f44db
	s_mov_b32 s16, 0x43842ef
	;; [unrolled: 1-line block ×8, first 2 shown]
	v_mul_f64 v[167:168], v[117:118], s[16:17]
	v_fma_f64 v[104:105], v[113:114], s[2:3], -v[149:150]
	v_fma_f64 v[106:107], v[137:138], s[10:11], v[157:158]
	v_mul_f64 v[169:170], v[115:116], s[8:9]
	v_add_f64 v[119:120], v[72:73], v[100:101]
	v_add_f64 v[129:130], v[72:73], -v[100:101]
	v_mul_f64 v[155:156], v[123:124], s[22:23]
	v_mul_f64 v[165:166], v[121:122], s[18:19]
	v_add_f64 v[131:132], v[78:79], -v[98:99]
	v_add_f64 v[127:128], v[98:99], v[78:79]
	s_mov_b32 s20, 0x9bcd5057
	s_mov_b32 s21, 0xbfeeb42a
	;; [unrolled: 1-line block ×4, first 2 shown]
	v_add_f64 v[104:105], v[64:65], v[104:105]
	v_add_f64 v[106:107], v[66:67], v[106:107]
	v_fma_f64 v[108:109], v[113:114], s[8:9], -v[167:168]
	v_fma_f64 v[110:111], v[137:138], s[16:17], v[169:170]
	v_fma_f64 v[133:134], v[119:120], s[18:19], -v[155:156]
	v_fma_f64 v[135:136], v[129:130], s[22:23], v[165:166]
	v_mul_f64 v[175:176], v[123:124], s[26:27]
	v_mul_f64 v[181:182], v[121:122], s[20:21]
	v_add_f64 v[125:126], v[96:97], v[76:77]
	v_add_f64 v[139:140], v[76:77], -v[96:97]
	v_mul_f64 v[225:226], v[131:132], s[26:27]
	v_mul_f64 v[171:172], v[127:128], s[20:21]
	s_mov_b32 s34, s10
	v_add_f64 v[108:109], v[64:65], v[108:109]
	v_add_f64 v[110:111], v[66:67], v[110:111]
	;; [unrolled: 1-line block ×4, first 2 shown]
	v_fma_f64 v[133:134], v[119:120], s[20:21], -v[175:176]
	v_fma_f64 v[135:136], v[129:130], s[26:27], v[181:182]
	v_fma_f64 v[143:144], v[125:126], s[20:21], -v[225:226]
	v_fma_f64 v[145:146], v[139:140], s[26:27], v[171:172]
	v_mul_f64 v[177:178], v[131:132], s[34:35]
	v_mul_f64 v[183:184], v[127:128], s[2:3]
	s_mov_b32 s28, 0x8764f0ba
	s_mov_b32 s30, 0xf8bb580b
	v_add_f64 v[108:109], v[133:134], v[108:109]
	v_add_f64 v[110:111], v[135:136], v[110:111]
	;; [unrolled: 1-line block ×4, first 2 shown]
	v_add_f64 v[143:144], v[82:83], -v[94:95]
	v_add_f64 v[135:136], v[94:95], v[82:83]
	v_fma_f64 v[145:146], v[125:126], s[2:3], -v[177:178]
	s_mov_b32 s36, s16
	s_mov_b32 s29, 0x3feaeb8c
	;; [unrolled: 1-line block ×3, first 2 shown]
	v_fma_f64 v[147:148], v[139:140], s[34:35], v[183:184]
	v_add_f64 v[133:134], v[92:93], v[80:81]
	v_add_f64 v[151:152], v[80:81], -v[92:93]
	v_mul_f64 v[153:154], v[143:144], s[36:37]
	v_mul_f64 v[173:174], v[135:136], s[8:9]
	;; [unrolled: 1-line block ×4, first 2 shown]
	v_add_f64 v[108:109], v[145:146], v[108:109]
	v_add_f64 v[159:160], v[86:87], -v[90:91]
	v_add_f64 v[145:146], v[86:87], v[90:91]
	s_mov_b32 s38, s30
	v_add_f64 v[110:111], v[147:148], v[110:111]
	v_fma_f64 v[197:198], v[133:134], s[8:9], -v[153:154]
	v_fma_f64 v[199:200], v[151:152], s[36:37], v[173:174]
	v_fma_f64 v[201:202], v[133:134], s[28:29], -v[185:186]
	v_fma_f64 v[203:204], v[151:152], s[30:31], v[189:190]
	v_add_f64 v[147:148], v[84:85], v[88:89]
	v_add_f64 v[161:162], v[84:85], -v[88:89]
	v_mul_f64 v[163:164], v[159:160], s[38:39]
	v_mul_f64 v[179:180], v[145:146], s[28:29]
	;; [unrolled: 1-line block ×4, first 2 shown]
	v_add_f64 v[104:105], v[197:198], v[104:105]
	v_add_f64 v[106:107], v[199:200], v[106:107]
	;; [unrolled: 1-line block ×4, first 2 shown]
	v_fma_f64 v[108:109], v[147:148], s[28:29], -v[163:164]
	v_fma_f64 v[110:111], v[161:162], s[38:39], v[179:180]
	v_fma_f64 v[201:202], v[147:148], s[18:19], -v[187:188]
	v_fma_f64 v[203:204], v[161:162], s[22:23], v[191:192]
	s_waitcnt lgkmcnt(0)
	; wave barrier
	v_add_f64 v[108:109], v[108:109], v[104:105]
	v_add_f64 v[110:111], v[110:111], v[106:107]
	;; [unrolled: 1-line block ×4, first 2 shown]
	s_and_saveexec_b64 s[24:25], vcc
	s_cbranch_execz .LBB0_17
; %bb.16:
	v_mul_f64 v[141:142], v[113:114], s[2:3]
	v_mul_f64 v[219:220], v[129:130], s[26:27]
	;; [unrolled: 1-line block ×5, first 2 shown]
	v_mov_b32_e32 v209, v248
	v_mul_f64 v[247:248], v[131:132], s[22:23]
	v_mul_f64 v[251:252], v[151:152], s[34:35]
	buffer_store_dword v141, off, s[44:47], 0 offset:32 ; 4-byte Folded Spill
	s_nop 0
	buffer_store_dword v142, off, s[44:47], 0 offset:36 ; 4-byte Folded Spill
	v_mul_f64 v[141:142], v[137:138], s[10:11]
	v_fma_f64 v[245:246], v[121:122], s[28:29], v[201:202]
	v_fma_f64 v[249:250], v[119:120], s[28:29], -v[237:238]
	v_fma_f64 v[253:254], v[127:128], s[18:19], v[243:244]
	v_fma_f64 v[201:202], v[121:122], s[28:29], -v[201:202]
	v_fma_f64 v[194:195], v[125:126], s[18:19], -v[247:248]
	;; [unrolled: 1-line block ×3, first 2 shown]
	v_mul_f64 v[211:212], v[137:138], s[16:17]
	buffer_store_dword v141, off, s[44:47], 0 offset:56 ; 4-byte Folded Spill
	s_nop 0
	buffer_store_dword v142, off, s[44:47], 0 offset:60 ; 4-byte Folded Spill
	v_mul_f64 v[141:142], v[113:114], s[8:9]
	v_add_f64 v[181:182], v[181:182], -v[219:220]
	v_mul_f64 v[221:222], v[137:138], s[22:23]
	v_mul_f64 v[215:216], v[161:162], s[34:35]
	;; [unrolled: 1-line block ×5, first 2 shown]
	v_add_f64 v[68:69], v[64:65], v[68:69]
	buffer_store_dword v141, off, s[44:47], 0 offset:80 ; 4-byte Folded Spill
	s_nop 0
	buffer_store_dword v142, off, s[44:47], 0 offset:84 ; 4-byte Folded Spill
	v_mul_f64 v[141:142], v[119:120], s[18:19]
	v_add_f64 v[70:71], v[66:67], v[70:71]
	v_mul_f64 v[241:242], v[161:162], s[22:23]
	v_add_f64 v[183:184], v[183:184], -v[227:228]
	v_add_f64 v[189:190], v[189:190], -v[235:236]
	v_add_f64 v[185:186], v[233:234], v[185:186]
	v_add_f64 v[72:73], v[72:73], v[68:69]
	v_mul_f64 v[205:206], v[147:148], s[18:19]
	buffer_store_dword v141, off, s[44:47], 0 offset:24 ; 4-byte Folded Spill
	s_nop 0
	buffer_store_dword v142, off, s[44:47], 0 offset:28 ; 4-byte Folded Spill
	v_mul_f64 v[141:142], v[129:130], s[22:23]
	v_add_f64 v[70:71], v[74:75], v[70:71]
	v_add_f64 v[191:192], v[191:192], -v[241:242]
	buffer_store_dword v141, off, s[44:47], 0 offset:48 ; 4-byte Folded Spill
	s_nop 0
	buffer_store_dword v142, off, s[44:47], 0 offset:52 ; 4-byte Folded Spill
	v_mul_f64 v[141:142], v[119:120], s[20:21]
	v_add_f64 v[70:71], v[78:79], v[70:71]
	v_add_f64 v[72:73], v[76:77], v[72:73]
	buffer_store_dword v141, off, s[44:47], 0 offset:64 ; 4-byte Folded Spill
	s_nop 0
	buffer_store_dword v142, off, s[44:47], 0 offset:68 ; 4-byte Folded Spill
	v_mul_f64 v[141:142], v[125:126], s[20:21]
	v_add_f64 v[70:71], v[82:83], v[70:71]
	v_add_f64 v[72:73], v[80:81], v[72:73]
	v_mul_f64 v[80:81], v[117:118], s[30:31]
	v_mul_f64 v[82:83], v[143:144], s[22:23]
	buffer_store_dword v141, off, s[44:47], 0 ; 4-byte Folded Spill
	s_nop 0
	buffer_store_dword v142, off, s[44:47], 0 offset:4 ; 4-byte Folded Spill
	v_mul_f64 v[141:142], v[139:140], s[26:27]
	s_mov_b32 s27, 0xbfd207e7
	v_mul_f64 v[197:198], v[137:138], s[26:27]
	v_mul_f64 v[199:200], v[117:118], s[26:27]
	;; [unrolled: 1-line block ×4, first 2 shown]
	v_add_f64 v[70:71], v[86:87], v[70:71]
	v_add_f64 v[72:73], v[84:85], v[72:73]
	buffer_store_dword v141, off, s[44:47], 0 offset:40 ; 4-byte Folded Spill
	s_nop 0
	buffer_store_dword v142, off, s[44:47], 0 offset:44 ; 4-byte Folded Spill
	v_mul_f64 v[141:142], v[125:126], s[2:3]
	v_fma_f64 v[203:204], v[115:116], s[20:21], v[197:198]
	v_fma_f64 v[239:240], v[113:114], s[20:21], -v[199:200]
	v_fma_f64 v[197:198], v[115:116], s[20:21], -v[197:198]
	v_fma_f64 v[207:208], v[135:136], s[20:21], v[213:214]
	v_fma_f64 v[84:85], v[113:114], s[28:29], v[80:81]
	v_fma_f64 v[80:81], v[113:114], s[28:29], -v[80:81]
	v_add_f64 v[70:71], v[90:91], v[70:71]
	buffer_store_dword v141, off, s[44:47], 0 offset:88 ; 4-byte Folded Spill
	s_nop 0
	buffer_store_dword v142, off, s[44:47], 0 offset:92 ; 4-byte Folded Spill
	v_mul_f64 v[141:142], v[133:134], s[8:9]
	v_add_f64 v[203:204], v[66:67], v[203:204]
	v_add_f64 v[239:240], v[64:65], v[239:240]
	;; [unrolled: 1-line block ×4, first 2 shown]
	v_mul_f64 v[86:87], v[131:132], s[16:17]
	v_add_f64 v[84:85], v[64:65], v[84:85]
	v_add_f64 v[70:71], v[94:95], v[70:71]
	buffer_store_dword v141, off, s[44:47], 0 offset:8 ; 4-byte Folded Spill
	s_nop 0
	buffer_store_dword v142, off, s[44:47], 0 offset:12 ; 4-byte Folded Spill
	v_mul_f64 v[141:142], v[151:152], s[36:37]
	v_add_f64 v[203:204], v[245:246], v[203:204]
	v_mul_f64 v[245:246], v[143:144], s[34:35]
	v_add_f64 v[239:240], v[249:250], v[239:240]
	;; [unrolled: 2-line block ×3, first 2 shown]
	v_add_f64 v[72:73], v[92:93], v[72:73]
	v_mul_f64 v[151:152], v[151:152], s[22:23]
	buffer_store_dword v141, off, s[44:47], 0 offset:72 ; 4-byte Folded Spill
	s_nop 0
	buffer_store_dword v142, off, s[44:47], 0 offset:76 ; 4-byte Folded Spill
	v_mul_f64 v[141:142], v[147:148], s[28:29]
	v_add_f64 v[201:202], v[253:254], v[203:204]
	v_fma_f64 v[203:204], v[133:134], s[2:3], -v[245:246]
	v_add_f64 v[194:195], v[194:195], v[239:240]
	v_mul_f64 v[253:254], v[159:160], s[16:17]
	v_add_f64 v[197:198], v[243:244], v[197:198]
	v_fma_f64 v[243:244], v[145:146], s[8:9], v[249:250]
	v_fma_f64 v[245:246], v[133:134], s[2:3], v[245:246]
	buffer_store_dword v141, off, s[44:47], 0 offset:16 ; 4-byte Folded Spill
	s_nop 0
	buffer_store_dword v142, off, s[44:47], 0 offset:20 ; 4-byte Folded Spill
	v_fma_f64 v[141:142], v[135:136], s[2:3], v[251:252]
	v_fma_f64 v[251:252], v[135:136], s[2:3], -v[251:252]
	v_add_f64 v[194:195], v[203:204], v[194:195]
	v_fma_f64 v[203:204], v[113:114], s[20:21], v[199:200]
	v_fma_f64 v[249:250], v[145:146], s[8:9], -v[249:250]
	v_mul_f64 v[239:240], v[161:162], s[38:39]
	v_fma_f64 v[90:91], v[125:126], s[8:9], v[86:87]
	v_fma_f64 v[86:87], v[125:126], s[8:9], -v[86:87]
	v_add_f64 v[141:142], v[141:142], v[201:202]
	v_fma_f64 v[201:202], v[147:148], s[8:9], -v[253:254]
	v_add_f64 v[251:252], v[251:252], v[197:198]
	v_add_f64 v[229:230], v[64:65], v[203:204]
	;; [unrolled: 1-line block ×5, first 2 shown]
	v_fma_f64 v[141:142], v[119:120], s[28:29], v[237:238]
	v_add_f64 v[197:198], v[201:202], v[194:195]
	v_fma_f64 v[194:195], v[125:126], s[18:19], v[247:248]
	v_mul_f64 v[201:202], v[139:140], s[30:31]
	v_mul_f64 v[247:248], v[117:118], s[22:23]
	;; [unrolled: 1-line block ×3, first 2 shown]
	v_fma_f64 v[243:244], v[115:116], s[18:19], v[221:222]
	v_add_f64 v[203:204], v[249:250], v[251:252]
	v_add_f64 v[141:142], v[141:142], v[229:230]
	v_fma_f64 v[229:230], v[147:148], s[8:9], v[253:254]
	v_mul_f64 v[251:252], v[123:124], s[36:37]
	v_fma_f64 v[223:224], v[127:128], s[28:29], v[201:202]
	v_fma_f64 v[231:232], v[127:128], s[28:29], -v[201:202]
	v_fma_f64 v[253:254], v[113:114], s[18:19], -v[247:248]
	v_fma_f64 v[249:250], v[121:122], s[8:9], v[237:238]
	v_add_f64 v[243:244], v[66:67], v[243:244]
	v_add_f64 v[141:142], v[194:195], v[141:142]
	v_mul_f64 v[194:195], v[131:132], s[30:31]
	v_fma_f64 v[221:222], v[115:116], s[18:19], -v[221:222]
	v_mul_f64 v[129:130], v[129:130], s[10:11]
	v_mul_f64 v[117:118], v[123:124], s[10:11]
	v_add_f64 v[253:254], v[64:65], v[253:254]
	v_mul_f64 v[139:140], v[139:140], s[16:17]
	v_add_f64 v[243:244], v[249:250], v[243:244]
	v_add_f64 v[141:142], v[245:246], v[141:142]
	v_fma_f64 v[249:250], v[119:120], s[8:9], -v[251:252]
	v_fma_f64 v[217:218], v[125:126], s[28:29], -v[194:195]
	v_fma_f64 v[245:246], v[145:146], s[2:3], v[215:216]
	v_add_f64 v[221:222], v[66:67], v[221:222]
	v_fma_f64 v[74:75], v[121:122], s[2:3], v[129:130]
	v_fma_f64 v[237:238], v[121:122], s[8:9], -v[237:238]
	v_add_f64 v[223:224], v[223:224], v[243:244]
	v_add_f64 v[201:202], v[229:230], v[141:142]
	v_add_f64 v[141:142], v[169:170], -v[211:212]
	v_fma_f64 v[211:212], v[135:136], s[20:21], -v[213:214]
	v_fma_f64 v[213:214], v[113:114], s[18:19], v[247:248]
	v_mov_b32_e32 v248, v209
	buffer_load_dword v209, off, s[44:47], 0 offset:80 ; 4-byte Folded Reload
	buffer_load_dword v210, off, s[44:47], 0 offset:84 ; 4-byte Folded Reload
	v_mul_f64 v[243:244], v[143:144], s[26:27]
	v_add_f64 v[249:250], v[249:250], v[253:254]
	v_add_f64 v[207:208], v[207:208], v[223:224]
	;; [unrolled: 1-line block ×3, first 2 shown]
	v_mul_f64 v[223:224], v[159:160], s[34:35]
	v_fma_f64 v[113:114], v[121:122], s[2:3], -v[129:130]
	v_fma_f64 v[229:230], v[119:120], s[8:9], v[251:252]
	v_add_f64 v[213:214], v[64:65], v[213:214]
	v_fma_f64 v[253:254], v[133:134], s[20:21], -v[243:244]
	v_add_f64 v[217:218], v[217:218], v[249:250]
	v_add_f64 v[169:170], v[245:246], v[207:208]
	;; [unrolled: 1-line block ×3, first 2 shown]
	buffer_load_dword v181, off, s[44:47], 0 offset:64 ; 4-byte Folded Reload
	buffer_load_dword v182, off, s[44:47], 0 offset:68 ; 4-byte Folded Reload
	v_fma_f64 v[207:208], v[147:148], s[2:3], -v[223:224]
	v_fma_f64 v[88:89], v[119:120], s[2:3], -v[117:118]
	v_fma_f64 v[76:77], v[127:128], s[8:9], v[139:140]
	v_add_f64 v[221:222], v[237:238], v[221:222]
	v_add_f64 v[217:218], v[253:254], v[217:218]
	v_fma_f64 v[194:195], v[125:126], s[28:29], v[194:195]
	v_add_f64 v[141:142], v[183:184], v[141:142]
	v_add_f64 v[213:214], v[229:230], v[213:214]
	v_add_f64 v[70:71], v[102:103], v[70:71]
	v_fma_f64 v[215:216], v[145:146], s[2:3], -v[215:216]
	v_add_f64 v[221:222], v[231:232], v[221:222]
	v_add_f64 v[141:142], v[189:190], v[141:142]
	;; [unrolled: 1-line block ×5, first 2 shown]
	s_waitcnt vmcnt(2)
	v_add_f64 v[219:220], v[209:210], v[167:168]
	v_add_f64 v[167:168], v[207:208], v[217:218]
	buffer_load_dword v209, off, s[44:47], 0 offset:56 ; 4-byte Folded Reload
	buffer_load_dword v210, off, s[44:47], 0 offset:60 ; 4-byte Folded Reload
	;; [unrolled: 1-line block ×4, first 2 shown]
	v_add_f64 v[207:208], v[64:65], v[219:220]
	s_waitcnt vmcnt(4)
	v_add_f64 v[181:182], v[181:182], v[175:176]
	v_add_f64 v[175:176], v[215:216], v[211:212]
	;; [unrolled: 1-line block ×3, first 2 shown]
	buffer_load_dword v207, off, s[44:47], 0 offset:48 ; 4-byte Folded Reload
	buffer_load_dword v208, off, s[44:47], 0 offset:52 ; 4-byte Folded Reload
	;; [unrolled: 1-line block ×4, first 2 shown]
	s_waitcnt vmcnt(6)
	v_add_f64 v[157:158], v[157:158], -v[209:210]
	s_waitcnt vmcnt(4)
	v_add_f64 v[177:178], v[183:184], v[177:178]
	v_fma_f64 v[183:184], v[133:134], s[20:21], v[243:244]
	v_add_f64 v[157:158], v[66:67], v[157:158]
	v_add_f64 v[177:178], v[177:178], v[181:182]
	v_fma_f64 v[181:182], v[147:148], s[2:3], v[223:224]
	v_add_f64 v[183:184], v[183:184], v[194:195]
	s_waitcnt vmcnt(2)
	v_add_f64 v[165:166], v[165:166], -v[207:208]
	s_waitcnt vmcnt(0)
	v_add_f64 v[171:172], v[171:172], -v[189:190]
	buffer_load_dword v189, off, s[44:47], 0 offset:32 ; 4-byte Folded Reload
	buffer_load_dword v190, off, s[44:47], 0 offset:36 ; 4-byte Folded Reload
	v_add_f64 v[157:158], v[165:166], v[157:158]
	v_add_f64 v[165:166], v[185:186], v[177:178]
	buffer_load_dword v177, off, s[44:47], 0 offset:72 ; 4-byte Folded Reload
	buffer_load_dword v178, off, s[44:47], 0 offset:76 ; 4-byte Folded Reload
	v_add_f64 v[157:158], v[171:172], v[157:158]
	v_add_f64 v[171:172], v[179:180], -v[239:240]
	v_fma_f64 v[179:180], v[115:116], s[28:29], v[137:138]
	v_fma_f64 v[115:116], v[115:116], s[28:29], -v[137:138]
	s_waitcnt vmcnt(2)
	v_add_f64 v[189:190], v[189:190], v[149:150]
	v_add_f64 v[149:150], v[191:192], v[141:142]
	;; [unrolled: 1-line block ×3, first 2 shown]
	s_waitcnt vmcnt(0)
	v_add_f64 v[173:174], v[173:174], -v[177:178]
	buffer_load_dword v177, off, s[44:47], 0 offset:24 ; 4-byte Folded Reload
	buffer_load_dword v178, off, s[44:47], 0 offset:28 ; 4-byte Folded Reload
	buffer_load_dword v185, off, s[44:47], 0 ; 4-byte Folded Reload
	buffer_load_dword v186, off, s[44:47], 0 offset:4 ; 4-byte Folded Reload
	buffer_load_dword v68, off, s[44:47], 0 offset:8 ; 4-byte Folded Reload
	;; [unrolled: 1-line block ×5, first 2 shown]
	v_add_f64 v[157:158], v[173:174], v[157:158]
	v_add_f64 v[173:174], v[66:67], v[179:180]
	;; [unrolled: 1-line block ×3, first 2 shown]
	v_fma_f64 v[115:116], v[119:120], s[2:3], v[117:118]
	v_add_f64 v[74:75], v[74:75], v[173:174]
	v_add_f64 v[66:67], v[113:114], v[66:67]
	;; [unrolled: 1-line block ×5, first 2 shown]
	v_mul_f64 v[76:77], v[159:160], s[26:27]
	v_add_f64 v[84:85], v[90:91], v[84:85]
	v_add_f64 v[90:91], v[100:101], v[72:73]
	v_fma_f64 v[92:93], v[147:148], s[20:21], -v[76:77]
	v_add_f64 v[0:1], v[0:1], v[90:91]
	s_waitcnt vmcnt(6)
	v_add_f64 v[155:156], v[177:178], v[155:156]
	v_add_f64 v[177:178], v[64:65], v[189:190]
	s_waitcnt vmcnt(4)
	v_add_f64 v[185:186], v[185:186], v[225:226]
	;; [unrolled: 3-line block ×3, first 2 shown]
	v_fma_f64 v[80:81], v[127:128], s[8:9], -v[139:140]
	v_add_f64 v[68:69], v[171:172], v[157:158]
	v_fma_f64 v[157:158], v[135:136], s[18:19], v[151:152]
	s_waitcnt vmcnt(0)
	v_add_f64 v[78:79], v[78:79], v[163:164]
	v_add_f64 v[155:156], v[155:156], v[177:178]
	;; [unrolled: 1-line block ×3, first 2 shown]
	v_fma_f64 v[88:89], v[135:136], s[18:19], -v[151:152]
	v_add_f64 v[66:67], v[80:81], v[66:67]
	v_fma_f64 v[80:81], v[133:134], s[18:19], v[82:83]
	v_fma_f64 v[82:83], v[133:134], s[18:19], -v[82:83]
	v_add_f64 v[74:75], v[157:158], v[74:75]
	v_add_f64 v[155:156], v[185:186], v[155:156]
	;; [unrolled: 1-line block ×4, first 2 shown]
	v_fma_f64 v[88:89], v[147:148], s[20:21], v[76:77]
	v_add_f64 v[80:81], v[80:81], v[84:85]
	v_add_f64 v[147:148], v[141:142], v[165:166]
	;; [unrolled: 1-line block ×3, first 2 shown]
	v_mul_f64 v[155:156], v[161:162], s[26:27]
	v_add_f64 v[64:65], v[82:83], v[64:65]
	v_add_f64 v[70:71], v[88:89], v[80:81]
	v_fma_f64 v[86:87], v[145:146], s[20:21], -v[155:156]
	v_fma_f64 v[84:85], v[145:146], s[20:21], v[155:156]
	v_add_f64 v[72:73], v[86:87], v[66:67]
	v_add_f64 v[66:67], v[78:79], v[153:154]
	;; [unrolled: 1-line block ×4, first 2 shown]
	v_lshlrev_b32_e32 v64, 4, v112
	ds_write_b128 v64, v[0:3]
	ds_write_b128 v64, v[70:73] offset:16
	ds_write_b128 v64, v[66:69] offset:32
	;; [unrolled: 1-line block ×10, first 2 shown]
.LBB0_17:
	s_or_b64 exec, exec, s[24:25]
	s_waitcnt lgkmcnt(0)
	; wave barrier
	s_waitcnt lgkmcnt(0)
	ds_read_b128 v[0:3], v193
	ds_read_b128 v[64:67], v193 offset:880
	ds_read_b128 v[68:71], v193 offset:1760
	;; [unrolled: 1-line block ×5, first 2 shown]
	s_waitcnt lgkmcnt(4)
	v_mul_f64 v[92:93], v[34:35], v[66:67]
	v_mul_f64 v[34:35], v[34:35], v[64:65]
	s_waitcnt lgkmcnt(3)
	v_mul_f64 v[94:95], v[30:31], v[70:71]
	v_mul_f64 v[30:31], v[30:31], v[68:69]
	;; [unrolled: 3-line block ×3, first 2 shown]
	ds_read_b128 v[84:87], v193 offset:5280
	ds_read_b128 v[88:91], v193 offset:6160
	s_mov_b32 s2, 0x667f3bcd
	v_fma_f64 v[64:65], v[32:33], v[64:65], v[92:93]
	v_fma_f64 v[32:33], v[32:33], v[66:67], -v[34:35]
	v_fma_f64 v[34:35], v[28:29], v[68:69], v[94:95]
	v_fma_f64 v[28:29], v[28:29], v[70:71], -v[30:31]
	;; [unrolled: 2-line block ×3, first 2 shown]
	s_waitcnt lgkmcnt(3)
	v_mul_f64 v[26:27], v[22:23], v[78:79]
	v_mul_f64 v[22:23], v[22:23], v[76:77]
	s_waitcnt lgkmcnt(1)
	v_mul_f64 v[66:67], v[46:47], v[86:87]
	v_mul_f64 v[46:47], v[46:47], v[84:85]
	;; [unrolled: 1-line block ×4, first 2 shown]
	s_waitcnt lgkmcnt(0)
	v_mul_f64 v[70:71], v[38:39], v[90:91]
	v_mul_f64 v[38:39], v[38:39], v[88:89]
	v_fma_f64 v[26:27], v[20:21], v[76:77], v[26:27]
	v_fma_f64 v[20:21], v[20:21], v[78:79], -v[22:23]
	v_fma_f64 v[22:23], v[44:45], v[84:85], v[66:67]
	v_fma_f64 v[44:45], v[44:45], v[86:87], -v[46:47]
	;; [unrolled: 2-line block ×4, first 2 shown]
	v_add_f64 v[26:27], v[0:1], -v[26:27]
	v_add_f64 v[20:21], v[2:3], -v[20:21]
	;; [unrolled: 1-line block ×8, first 2 shown]
	v_fma_f64 v[0:1], v[0:1], 2.0, -v[26:27]
	v_fma_f64 v[2:3], v[2:3], 2.0, -v[20:21]
	;; [unrolled: 1-line block ×8, first 2 shown]
	v_add_f64 v[64:65], v[26:27], v[38:39]
	v_add_f64 v[66:67], v[20:21], -v[22:23]
	v_add_f64 v[36:37], v[44:45], v[36:37]
	v_add_f64 v[38:39], v[40:41], -v[42:43]
	v_add_f64 v[42:43], v[0:1], -v[34:35]
	;; [unrolled: 1-line block ×5, first 2 shown]
	v_fma_f64 v[70:71], v[26:27], 2.0, -v[64:65]
	v_fma_f64 v[72:73], v[20:21], 2.0, -v[66:67]
	;; [unrolled: 1-line block ×8, first 2 shown]
	s_mov_b32 s3, 0xbfe6a09e
	s_mov_b32 s9, 0x3fe6a09e
	v_fma_f64 v[32:33], v[20:21], s[2:3], v[70:71]
	v_fma_f64 v[44:45], v[26:27], s[2:3], v[72:73]
	s_mov_b32 s8, s2
	v_fma_f64 v[46:47], v[36:37], s[8:9], v[64:65]
	v_fma_f64 v[74:75], v[38:39], s[8:9], v[66:67]
	v_add_f64 v[28:29], v[34:35], -v[0:1]
	v_add_f64 v[30:31], v[40:41], -v[2:3]
	;; [unrolled: 1-line block ×3, first 2 shown]
	v_fma_f64 v[0:1], v[26:27], s[8:9], v[32:33]
	v_fma_f64 v[2:3], v[20:21], s[2:3], v[44:45]
	v_add_f64 v[20:21], v[42:43], v[24:25]
	v_fma_f64 v[24:25], v[38:39], s[8:9], v[46:47]
	v_fma_f64 v[26:27], v[36:37], s[2:3], v[74:75]
	v_fma_f64 v[32:33], v[34:35], 2.0, -v[28:29]
	v_fma_f64 v[34:35], v[40:41], 2.0, -v[30:31]
	;; [unrolled: 1-line block ×8, first 2 shown]
	; wave barrier
	ds_write_b128 v196, v[32:35]
	ds_write_b128 v196, v[36:39] offset:176
	ds_write_b128 v196, v[40:43] offset:352
	;; [unrolled: 1-line block ×7, first 2 shown]
	s_waitcnt lgkmcnt(0)
	; wave barrier
	s_waitcnt lgkmcnt(0)
	ds_read_b128 v[28:31], v193
	ds_read_b128 v[44:47], v193 offset:1408
	ds_read_b128 v[32:35], v193 offset:2816
	;; [unrolled: 1-line block ×4, first 2 shown]
	s_and_saveexec_b64 s[2:3], s[0:1]
	s_cbranch_execz .LBB0_19
; %bb.18:
	ds_read_b128 v[0:3], v193 offset:880
	ds_read_b128 v[20:23], v193 offset:2288
	;; [unrolled: 1-line block ×5, first 2 shown]
.LBB0_19:
	s_or_b64 exec, exec, s[2:3]
	s_waitcnt lgkmcnt(2)
	v_mul_f64 v[64:65], v[58:59], v[34:35]
	s_waitcnt lgkmcnt(1)
	v_mul_f64 v[66:67], v[54:55], v[38:39]
	v_mul_f64 v[68:69], v[62:63], v[46:47]
	;; [unrolled: 1-line block ×4, first 2 shown]
	s_waitcnt lgkmcnt(0)
	v_mul_f64 v[70:71], v[50:51], v[40:41]
	s_mov_b32 s2, 0x134454ff
	s_mov_b32 s3, 0xbfee6f0e
	v_fma_f64 v[64:65], v[56:57], v[32:33], v[64:65]
	v_fma_f64 v[66:67], v[52:53], v[36:37], v[66:67]
	v_mul_f64 v[32:33], v[54:55], v[36:37]
	v_mul_f64 v[36:37], v[50:51], v[42:43]
	v_fma_f64 v[44:45], v[60:61], v[44:45], v[68:69]
	v_fma_f64 v[46:47], v[60:61], v[46:47], -v[62:63]
	v_fma_f64 v[42:43], v[48:49], v[42:43], -v[70:71]
	;; [unrolled: 1-line block ×3, first 2 shown]
	s_mov_b32 s17, 0x3fee6f0e
	v_add_f64 v[50:51], v[64:65], v[66:67]
	v_fma_f64 v[38:39], v[52:53], v[38:39], -v[32:33]
	v_fma_f64 v[36:37], v[48:49], v[40:41], v[36:37]
	v_add_f64 v[32:33], v[28:29], v[44:45]
	v_add_f64 v[52:53], v[44:45], -v[64:65]
	v_add_f64 v[40:41], v[46:47], -v[42:43]
	s_mov_b32 s16, s2
	v_add_f64 v[68:69], v[46:47], v[42:43]
	v_fma_f64 v[48:49], v[50:51], -0.5, v[28:29]
	v_add_f64 v[50:51], v[34:35], -v[38:39]
	v_add_f64 v[54:55], v[36:37], -v[66:67]
	v_add_f64 v[56:57], v[44:45], v[36:37]
	v_add_f64 v[32:33], v[32:33], v[64:65]
	s_mov_b32 s8, 0x4755a5e
	s_mov_b32 s9, 0xbfe2cf23
	v_add_f64 v[62:63], v[30:31], v[46:47]
	v_fma_f64 v[58:59], v[40:41], s[2:3], v[48:49]
	v_fma_f64 v[48:49], v[40:41], s[16:17], v[48:49]
	v_add_f64 v[52:53], v[52:53], v[54:55]
	v_fma_f64 v[54:55], v[56:57], -0.5, v[28:29]
	v_add_f64 v[28:29], v[32:33], v[66:67]
	v_add_f64 v[56:57], v[34:35], v[38:39]
	s_mov_b32 s19, 0x3fe2cf23
	s_mov_b32 s18, s8
	v_add_f64 v[60:61], v[64:65], -v[44:45]
	v_fma_f64 v[32:33], v[50:51], s[8:9], v[58:59]
	v_add_f64 v[58:59], v[66:67], -v[36:37]
	v_fma_f64 v[70:71], v[50:51], s[16:17], v[54:55]
	v_add_f64 v[28:29], v[28:29], v[36:37]
	v_fma_f64 v[56:57], v[56:57], -0.5, v[30:31]
	v_add_f64 v[36:37], v[44:45], -v[36:37]
	v_fma_f64 v[44:45], v[50:51], s[18:19], v[48:49]
	v_add_f64 v[48:49], v[64:65], -v[66:67]
	v_fma_f64 v[30:31], v[68:69], -0.5, v[30:31]
	v_fma_f64 v[50:51], v[50:51], s[2:3], v[54:55]
	v_add_f64 v[54:55], v[62:63], v[34:35]
	v_add_f64 v[58:59], v[60:61], v[58:59]
	v_add_f64 v[62:63], v[46:47], -v[34:35]
	v_fma_f64 v[60:61], v[36:37], s[16:17], v[56:57]
	v_add_f64 v[66:67], v[42:43], -v[38:39]
	v_add_f64 v[34:35], v[34:35], -v[46:47]
	v_fma_f64 v[68:69], v[48:49], s[2:3], v[30:31]
	v_add_f64 v[46:47], v[38:39], -v[42:43]
	v_fma_f64 v[30:31], v[48:49], s[16:17], v[30:31]
	v_fma_f64 v[56:57], v[36:37], s[2:3], v[56:57]
	v_add_f64 v[38:39], v[54:55], v[38:39]
	v_fma_f64 v[54:55], v[48:49], s[18:19], v[60:61]
	v_add_f64 v[60:61], v[62:63], v[66:67]
	v_fma_f64 v[64:65], v[40:41], s[8:9], v[70:71]
	v_fma_f64 v[62:63], v[36:37], s[18:19], v[68:69]
	v_add_f64 v[46:47], v[34:35], v[46:47]
	v_fma_f64 v[50:51], v[40:41], s[18:19], v[50:51]
	v_fma_f64 v[66:67], v[36:37], s[8:9], v[30:31]
	;; [unrolled: 1-line block ×3, first 2 shown]
	s_mov_b32 s10, 0x372fe950
	s_mov_b32 s11, 0x3fd3c6ef
	v_add_f64 v[30:31], v[38:39], v[42:43]
	v_fma_f64 v[32:33], v[52:53], s[10:11], v[32:33]
	v_fma_f64 v[34:35], v[60:61], s[10:11], v[54:55]
	;; [unrolled: 1-line block ×8, first 2 shown]
	ds_write_b128 v193, v[28:31]
	ds_write_b128 v193, v[32:35] offset:1408
	ds_write_b128 v193, v[40:43] offset:2816
	;; [unrolled: 1-line block ×4, first 2 shown]
	s_and_saveexec_b64 s[20:21], s[0:1]
	s_cbranch_execz .LBB0_21
; %bb.20:
	v_mul_f64 v[28:29], v[18:19], v[24:25]
	v_mul_f64 v[30:31], v[6:7], v[20:21]
	;; [unrolled: 1-line block ×8, first 2 shown]
	v_fma_f64 v[26:27], v[16:17], v[26:27], -v[28:29]
	v_fma_f64 v[22:23], v[4:5], v[22:23], -v[30:31]
	;; [unrolled: 1-line block ×4, first 2 shown]
	v_fma_f64 v[16:17], v[16:17], v[24:25], v[18:19]
	v_fma_f64 v[12:13], v[12:13], v[104:105], v[14:15]
	;; [unrolled: 1-line block ×4, first 2 shown]
	v_add_f64 v[10:11], v[26:27], -v[22:23]
	v_add_f64 v[6:7], v[28:29], v[22:23]
	v_add_f64 v[24:25], v[26:27], v[30:31]
	v_add_f64 v[14:15], v[30:31], -v[28:29]
	v_add_f64 v[18:19], v[16:17], -v[12:13]
	v_add_f64 v[36:37], v[2:3], v[22:23]
	v_add_f64 v[20:21], v[4:5], -v[8:9]
	v_add_f64 v[46:47], v[16:17], v[12:13]
	v_add_f64 v[48:49], v[0:1], v[4:5]
	v_fma_f64 v[6:7], v[6:7], -0.5, v[2:3]
	v_fma_f64 v[2:3], v[24:25], -0.5, v[2:3]
	v_add_f64 v[24:25], v[8:9], v[4:5]
	v_add_f64 v[10:11], v[14:15], v[10:11]
	v_add_f64 v[32:33], v[22:23], -v[26:27]
	v_add_f64 v[34:35], v[28:29], -v[30:31]
	;; [unrolled: 1-line block ×4, first 2 shown]
	v_fma_f64 v[42:43], v[18:19], s[16:17], v[6:7]
	v_fma_f64 v[6:7], v[18:19], s[2:3], v[6:7]
	;; [unrolled: 1-line block ×4, first 2 shown]
	v_fma_f64 v[24:25], v[24:25], -0.5, v[0:1]
	v_fma_f64 v[0:1], v[46:47], -0.5, v[0:1]
	v_add_f64 v[38:39], v[16:17], -v[4:5]
	v_add_f64 v[26:27], v[26:27], v[36:37]
	v_fma_f64 v[42:43], v[20:21], s[8:9], v[42:43]
	v_fma_f64 v[6:7], v[20:21], s[18:19], v[6:7]
	;; [unrolled: 1-line block ×4, first 2 shown]
	v_add_f64 v[4:5], v[4:5], -v[16:17]
	v_add_f64 v[16:17], v[16:17], v[48:49]
	v_add_f64 v[20:21], v[34:35], v[32:33]
	v_fma_f64 v[32:33], v[22:23], s[2:3], v[0:1]
	v_fma_f64 v[2:3], v[10:11], s[10:11], v[42:43]
	;; [unrolled: 1-line block ×3, first 2 shown]
	v_add_f64 v[10:11], v[8:9], -v[12:13]
	v_add_f64 v[40:41], v[12:13], -v[8:9]
	v_fma_f64 v[34:35], v[44:45], s[16:17], v[24:25]
	v_fma_f64 v[24:25], v[44:45], s[2:3], v[24:25]
	;; [unrolled: 1-line block ×3, first 2 shown]
	v_add_f64 v[26:27], v[30:31], v[26:27]
	v_add_f64 v[36:37], v[10:11], v[4:5]
	;; [unrolled: 1-line block ×3, first 2 shown]
	v_fma_f64 v[12:13], v[44:45], s[8:9], v[32:33]
	v_add_f64 v[30:31], v[40:41], v[38:39]
	v_fma_f64 v[32:33], v[22:23], s[8:9], v[34:35]
	v_fma_f64 v[22:23], v[22:23], s[18:19], v[24:25]
	;; [unrolled: 1-line block ×5, first 2 shown]
	v_add_f64 v[18:19], v[28:29], v[26:27]
	v_add_f64 v[16:17], v[8:9], v[4:5]
	v_fma_f64 v[12:13], v[36:37], s[10:11], v[12:13]
	v_fma_f64 v[4:5], v[30:31], s[10:11], v[32:33]
	;; [unrolled: 1-line block ×4, first 2 shown]
	ds_write_b128 v193, v[16:19] offset:880
	ds_write_b128 v193, v[12:15] offset:2288
	;; [unrolled: 1-line block ×5, first 2 shown]
.LBB0_21:
	s_or_b64 exec, exec, s[20:21]
	s_waitcnt lgkmcnt(0)
	; wave barrier
	s_waitcnt lgkmcnt(0)
	s_and_b64 exec, exec, vcc
	s_cbranch_execz .LBB0_23
; %bb.22:
	global_load_dwordx4 v[0:3], v193, s[14:15]
	global_load_dwordx4 v[4:7], v193, s[14:15] offset:640
	global_load_dwordx4 v[8:11], v193, s[14:15] offset:1280
	;; [unrolled: 1-line block ×5, first 2 shown]
	ds_read_b128 v[24:27], v193
	ds_read_b128 v[28:31], v193 offset:640
	ds_read_b128 v[32:35], v193 offset:1280
	;; [unrolled: 1-line block ×5, first 2 shown]
	global_load_dwordx4 v[48:51], v193, s[14:15] offset:3840
	ds_read_b128 v[52:55], v193 offset:6400
	v_mov_b32_e32 v56, s15
	v_add_co_u32_e32 v57, vcc, s14, v193
	s_movk_i32 s8, 0x1000
	v_addc_co_u32_e32 v56, vcc, 0, v56, vcc
	v_add_co_u32_e32 v76, vcc, s8, v57
	v_addc_co_u32_e32 v77, vcc, 0, v56, vcc
	global_load_dwordx4 v[56:59], v[76:77], off offset:384
	global_load_dwordx4 v[60:63], v[76:77], off offset:1664
	v_mad_u64_u32 v[72:73], s[0:1], s6, v248, 0
	v_mad_u64_u32 v[74:75], s[2:3], s4, v255, 0
	s_mul_i32 s3, s5, 0x280
	s_mul_hi_u32 s6, s4, 0x280
	v_or_b32_e32 v90, 0x140, v255
	v_mov_b32_e32 v64, v73
	v_mov_b32_e32 v65, v75
	s_add_i32 s3, s6, s3
	v_lshlrev_b32_e32 v82, 4, v90
	v_mad_u64_u32 v[78:79], s[6:7], s7, v248, v[64:65]
	v_mad_u64_u32 v[79:80], s[6:7], s5, v255, v[65:66]
	global_load_dwordx4 v[64:67], v82, s[14:15]
	global_load_dwordx4 v[68:71], v[76:77], off offset:2304
	v_mov_b32_e32 v73, v78
	v_lshlrev_b64 v[72:73], 4, v[72:73]
	v_mov_b32_e32 v75, v79
	v_mov_b32_e32 v81, s13
	v_lshlrev_b64 v[74:75], 4, v[74:75]
	v_add_co_u32_e32 v92, vcc, s12, v72
	v_addc_co_u32_e32 v93, vcc, v81, v73, vcc
	v_add_co_u32_e32 v72, vcc, v92, v74
	s_mul_i32 s2, s4, 0x280
	v_addc_co_u32_e32 v73, vcc, v93, v75, vcc
	v_mov_b32_e32 v83, s3
	v_add_co_u32_e32 v74, vcc, s2, v72
	v_addc_co_u32_e32 v75, vcc, v73, v83, vcc
	v_mov_b32_e32 v84, s3
	v_add_co_u32_e32 v76, vcc, s2, v74
	v_addc_co_u32_e32 v77, vcc, v75, v84, vcc
	s_mov_b32 s0, 0x29e4129e
	s_mov_b32 s1, 0x3f629e41
	v_mov_b32_e32 v91, s3
	s_waitcnt vmcnt(10) lgkmcnt(6)
	v_mul_f64 v[78:79], v[26:27], v[2:3]
	v_mul_f64 v[2:3], v[24:25], v[2:3]
	s_waitcnt vmcnt(9) lgkmcnt(5)
	v_mul_f64 v[80:81], v[30:31], v[6:7]
	v_mul_f64 v[6:7], v[28:29], v[6:7]
	s_waitcnt vmcnt(8) lgkmcnt(4)
	v_mul_f64 v[82:83], v[34:35], v[10:11]
	v_mul_f64 v[10:11], v[32:33], v[10:11]
	s_waitcnt vmcnt(7) lgkmcnt(3)
	v_mul_f64 v[84:85], v[38:39], v[14:15]
	v_mul_f64 v[14:15], v[36:37], v[14:15]
	v_fma_f64 v[24:25], v[24:25], v[0:1], v[78:79]
	v_fma_f64 v[2:3], v[0:1], v[26:27], -v[2:3]
	v_fma_f64 v[26:27], v[28:29], v[4:5], v[80:81]
	v_fma_f64 v[6:7], v[4:5], v[30:31], -v[6:7]
	;; [unrolled: 2-line block ×3, first 2 shown]
	s_waitcnt vmcnt(6) lgkmcnt(2)
	v_mul_f64 v[86:87], v[42:43], v[18:19]
	v_mul_f64 v[18:19], v[40:41], v[18:19]
	v_fma_f64 v[30:31], v[36:37], v[12:13], v[84:85]
	v_fma_f64 v[14:15], v[12:13], v[38:39], -v[14:15]
	v_mul_f64 v[0:1], v[24:25], s[0:1]
	v_mul_f64 v[2:3], v[2:3], s[0:1]
	;; [unrolled: 1-line block ×6, first 2 shown]
	s_waitcnt vmcnt(5) lgkmcnt(1)
	v_mul_f64 v[88:89], v[46:47], v[22:23]
	v_mul_f64 v[22:23], v[44:45], v[22:23]
	v_fma_f64 v[24:25], v[40:41], v[16:17], v[86:87]
	v_fma_f64 v[16:17], v[16:17], v[42:43], -v[18:19]
	v_mul_f64 v[12:13], v[30:31], s[0:1]
	v_mul_f64 v[14:15], v[14:15], s[0:1]
	global_store_dwordx4 v[72:73], v[0:3], off
	global_store_dwordx4 v[74:75], v[4:7], off
	;; [unrolled: 1-line block ×3, first 2 shown]
	ds_read_b128 v[4:7], v193 offset:3840
	ds_read_b128 v[8:11], v193 offset:4480
	v_add_co_u32_e32 v18, vcc, s2, v76
	v_addc_co_u32_e32 v19, vcc, v77, v91, vcc
	global_store_dwordx4 v[18:19], v[12:15], off
	v_mul_f64 v[0:1], v[24:25], s[0:1]
	v_mul_f64 v[2:3], v[16:17], s[0:1]
	v_fma_f64 v[12:13], v[44:45], v[20:21], v[88:89]
	v_fma_f64 v[14:15], v[20:21], v[46:47], -v[22:23]
	s_waitcnt vmcnt(8) lgkmcnt(1)
	v_mul_f64 v[16:17], v[6:7], v[50:51]
	v_mul_f64 v[20:21], v[4:5], v[50:51]
	v_mov_b32_e32 v24, s3
	v_add_co_u32_e32 v18, vcc, s2, v18
	v_addc_co_u32_e32 v19, vcc, v19, v24, vcc
	global_store_dwordx4 v[18:19], v[0:3], off
	v_fma_f64 v[4:5], v[4:5], v[48:49], v[16:17]
	v_mul_f64 v[0:1], v[12:13], s[0:1]
	v_mul_f64 v[2:3], v[14:15], s[0:1]
	v_fma_f64 v[6:7], v[48:49], v[6:7], -v[20:21]
	s_waitcnt vmcnt(8) lgkmcnt(0)
	v_mul_f64 v[12:13], v[10:11], v[58:59]
	v_mul_f64 v[14:15], v[8:9], v[58:59]
	v_mov_b32_e32 v22, s3
	v_add_co_u32_e32 v16, vcc, s2, v18
	v_addc_co_u32_e32 v17, vcc, v19, v22, vcc
	global_store_dwordx4 v[16:17], v[0:3], off
	v_mov_b32_e32 v18, s3
	v_mul_f64 v[0:1], v[4:5], s[0:1]
	v_mul_f64 v[2:3], v[6:7], s[0:1]
	v_fma_f64 v[4:5], v[8:9], v[56:57], v[12:13]
	v_fma_f64 v[6:7], v[56:57], v[10:11], -v[14:15]
	v_add_co_u32_e32 v12, vcc, s2, v16
	v_addc_co_u32_e32 v13, vcc, v17, v18, vcc
	ds_read_b128 v[8:11], v193 offset:5760
	global_store_dwordx4 v[12:13], v[0:3], off
	v_mul_f64 v[4:5], v[4:5], s[0:1]
	v_mul_f64 v[6:7], v[6:7], s[0:1]
	ds_read_b128 v[0:3], v193 offset:5120
	v_add_co_u32_e32 v12, vcc, s2, v12
	v_addc_co_u32_e32 v13, vcc, v13, v18, vcc
	s_waitcnt vmcnt(8) lgkmcnt(0)
	v_mul_f64 v[14:15], v[2:3], v[66:67]
	v_mul_f64 v[16:17], v[0:1], v[66:67]
	global_store_dwordx4 v[12:13], v[4:7], off
	v_mad_u64_u32 v[18:19], s[6:7], s4, v90, 0
	v_mul_f64 v[5:6], v[10:11], v[62:63]
	v_mov_b32_e32 v4, v19
	v_fma_f64 v[0:1], v[0:1], v[64:65], v[14:15]
	v_fma_f64 v[2:3], v[64:65], v[2:3], -v[16:17]
	v_mad_u64_u32 v[14:15], s[6:7], s5, v90, v[4:5]
	v_mul_f64 v[15:16], v[8:9], v[62:63]
	v_fma_f64 v[4:5], v[8:9], v[60:61], v[5:6]
	s_waitcnt vmcnt(8)
	v_mul_f64 v[6:7], v[54:55], v[70:71]
	v_mul_f64 v[8:9], v[52:53], v[70:71]
	;; [unrolled: 1-line block ×4, first 2 shown]
	v_mov_b32_e32 v19, v14
	v_lshlrev_b64 v[17:18], 4, v[18:19]
	v_fma_f64 v[10:11], v[60:61], v[10:11], -v[15:16]
	v_add_co_u32_e32 v14, vcc, v92, v17
	v_fma_f64 v[6:7], v[52:53], v[68:69], v[6:7]
	v_fma_f64 v[8:9], v[68:69], v[54:55], -v[8:9]
	v_addc_co_u32_e32 v15, vcc, v93, v18, vcc
	global_store_dwordx4 v[14:15], v[0:3], off
	s_nop 0
	v_mul_f64 v[0:1], v[4:5], s[0:1]
	v_mul_f64 v[2:3], v[10:11], s[0:1]
	v_mov_b32_e32 v4, 0x500
	v_mad_u64_u32 v[10:11], s[6:7], s4, v4, v[12:13]
	v_mul_f64 v[4:5], v[6:7], s[0:1]
	v_mul_f64 v[6:7], v[8:9], s[0:1]
	s_mul_i32 s4, s5, 0x500
	v_add_u32_e32 v11, s4, v11
	global_store_dwordx4 v[10:11], v[0:3], off
	s_nop 0
	v_mov_b32_e32 v1, s3
	v_add_co_u32_e32 v0, vcc, s2, v10
	v_addc_co_u32_e32 v1, vcc, v11, v1, vcc
	global_store_dwordx4 v[0:1], v[4:7], off
.LBB0_23:
	s_endpgm
	.section	.rodata,"a",@progbits
	.p2align	6, 0x0
	.amdhsa_kernel bluestein_single_back_len440_dim1_dp_op_CI_CI
		.amdhsa_group_segment_fixed_size 7040
		.amdhsa_private_segment_fixed_size 100
		.amdhsa_kernarg_size 104
		.amdhsa_user_sgpr_count 6
		.amdhsa_user_sgpr_private_segment_buffer 1
		.amdhsa_user_sgpr_dispatch_ptr 0
		.amdhsa_user_sgpr_queue_ptr 0
		.amdhsa_user_sgpr_kernarg_segment_ptr 1
		.amdhsa_user_sgpr_dispatch_id 0
		.amdhsa_user_sgpr_flat_scratch_init 0
		.amdhsa_user_sgpr_private_segment_size 0
		.amdhsa_uses_dynamic_stack 0
		.amdhsa_system_sgpr_private_segment_wavefront_offset 1
		.amdhsa_system_sgpr_workgroup_id_x 1
		.amdhsa_system_sgpr_workgroup_id_y 0
		.amdhsa_system_sgpr_workgroup_id_z 0
		.amdhsa_system_sgpr_workgroup_info 0
		.amdhsa_system_vgpr_workitem_id 0
		.amdhsa_next_free_vgpr 256
		.amdhsa_next_free_sgpr 48
		.amdhsa_reserve_vcc 1
		.amdhsa_reserve_flat_scratch 0
		.amdhsa_float_round_mode_32 0
		.amdhsa_float_round_mode_16_64 0
		.amdhsa_float_denorm_mode_32 3
		.amdhsa_float_denorm_mode_16_64 3
		.amdhsa_dx10_clamp 1
		.amdhsa_ieee_mode 1
		.amdhsa_fp16_overflow 0
		.amdhsa_exception_fp_ieee_invalid_op 0
		.amdhsa_exception_fp_denorm_src 0
		.amdhsa_exception_fp_ieee_div_zero 0
		.amdhsa_exception_fp_ieee_overflow 0
		.amdhsa_exception_fp_ieee_underflow 0
		.amdhsa_exception_fp_ieee_inexact 0
		.amdhsa_exception_int_div_zero 0
	.end_amdhsa_kernel
	.text
.Lfunc_end0:
	.size	bluestein_single_back_len440_dim1_dp_op_CI_CI, .Lfunc_end0-bluestein_single_back_len440_dim1_dp_op_CI_CI
                                        ; -- End function
	.section	.AMDGPU.csdata,"",@progbits
; Kernel info:
; codeLenInByte = 14364
; NumSgprs: 52
; NumVgprs: 256
; ScratchSize: 100
; MemoryBound: 0
; FloatMode: 240
; IeeeMode: 1
; LDSByteSize: 7040 bytes/workgroup (compile time only)
; SGPRBlocks: 6
; VGPRBlocks: 63
; NumSGPRsForWavesPerEU: 52
; NumVGPRsForWavesPerEU: 256
; Occupancy: 1
; WaveLimiterHint : 1
; COMPUTE_PGM_RSRC2:SCRATCH_EN: 1
; COMPUTE_PGM_RSRC2:USER_SGPR: 6
; COMPUTE_PGM_RSRC2:TRAP_HANDLER: 0
; COMPUTE_PGM_RSRC2:TGID_X_EN: 1
; COMPUTE_PGM_RSRC2:TGID_Y_EN: 0
; COMPUTE_PGM_RSRC2:TGID_Z_EN: 0
; COMPUTE_PGM_RSRC2:TIDIG_COMP_CNT: 0
	.type	__hip_cuid_5331612b0f6fd3c2,@object ; @__hip_cuid_5331612b0f6fd3c2
	.section	.bss,"aw",@nobits
	.globl	__hip_cuid_5331612b0f6fd3c2
__hip_cuid_5331612b0f6fd3c2:
	.byte	0                               ; 0x0
	.size	__hip_cuid_5331612b0f6fd3c2, 1

	.ident	"AMD clang version 19.0.0git (https://github.com/RadeonOpenCompute/llvm-project roc-6.4.0 25133 c7fe45cf4b819c5991fe208aaa96edf142730f1d)"
	.section	".note.GNU-stack","",@progbits
	.addrsig
	.addrsig_sym __hip_cuid_5331612b0f6fd3c2
	.amdgpu_metadata
---
amdhsa.kernels:
  - .args:
      - .actual_access:  read_only
        .address_space:  global
        .offset:         0
        .size:           8
        .value_kind:     global_buffer
      - .actual_access:  read_only
        .address_space:  global
        .offset:         8
        .size:           8
        .value_kind:     global_buffer
      - .actual_access:  read_only
        .address_space:  global
        .offset:         16
        .size:           8
        .value_kind:     global_buffer
      - .actual_access:  read_only
        .address_space:  global
        .offset:         24
        .size:           8
        .value_kind:     global_buffer
      - .actual_access:  read_only
        .address_space:  global
        .offset:         32
        .size:           8
        .value_kind:     global_buffer
      - .offset:         40
        .size:           8
        .value_kind:     by_value
      - .address_space:  global
        .offset:         48
        .size:           8
        .value_kind:     global_buffer
      - .address_space:  global
        .offset:         56
        .size:           8
        .value_kind:     global_buffer
      - .address_space:  global
        .offset:         64
        .size:           8
        .value_kind:     global_buffer
      - .address_space:  global
        .offset:         72
        .size:           8
        .value_kind:     global_buffer
      - .offset:         80
        .size:           4
        .value_kind:     by_value
      - .address_space:  global
        .offset:         88
        .size:           8
        .value_kind:     global_buffer
      - .address_space:  global
        .offset:         96
        .size:           8
        .value_kind:     global_buffer
    .group_segment_fixed_size: 7040
    .kernarg_segment_align: 8
    .kernarg_segment_size: 104
    .language:       OpenCL C
    .language_version:
      - 2
      - 0
    .max_flat_workgroup_size: 55
    .name:           bluestein_single_back_len440_dim1_dp_op_CI_CI
    .private_segment_fixed_size: 100
    .sgpr_count:     52
    .sgpr_spill_count: 0
    .symbol:         bluestein_single_back_len440_dim1_dp_op_CI_CI.kd
    .uniform_work_group_size: 1
    .uses_dynamic_stack: false
    .vgpr_count:     256
    .vgpr_spill_count: 24
    .wavefront_size: 64
amdhsa.target:   amdgcn-amd-amdhsa--gfx906
amdhsa.version:
  - 1
  - 2
...

	.end_amdgpu_metadata
